;; amdgpu-corpus repo=ROCm/rocSPARSE kind=compiled arch=gfx90a opt=O3
	.text
	.amdgcn_target "amdgcn-amd-amdhsa--gfx90a"
	.amdhsa_code_object_version 6
	.section	.text._ZN9rocsparseL31gebsrmm_general_blockdim_kernelILi32ELi32EfEEv20rocsparse_direction_20rocsparse_operation_iiNS_24const_host_device_scalarIT1_EEPKiS7_PKS4_iiS9_lS5_PS4_l21rocsparse_index_base_b,"axG",@progbits,_ZN9rocsparseL31gebsrmm_general_blockdim_kernelILi32ELi32EfEEv20rocsparse_direction_20rocsparse_operation_iiNS_24const_host_device_scalarIT1_EEPKiS7_PKS4_iiS9_lS5_PS4_l21rocsparse_index_base_b,comdat
	.globl	_ZN9rocsparseL31gebsrmm_general_blockdim_kernelILi32ELi32EfEEv20rocsparse_direction_20rocsparse_operation_iiNS_24const_host_device_scalarIT1_EEPKiS7_PKS4_iiS9_lS5_PS4_l21rocsparse_index_base_b ; -- Begin function _ZN9rocsparseL31gebsrmm_general_blockdim_kernelILi32ELi32EfEEv20rocsparse_direction_20rocsparse_operation_iiNS_24const_host_device_scalarIT1_EEPKiS7_PKS4_iiS9_lS5_PS4_l21rocsparse_index_base_b
	.p2align	8
	.type	_ZN9rocsparseL31gebsrmm_general_blockdim_kernelILi32ELi32EfEEv20rocsparse_direction_20rocsparse_operation_iiNS_24const_host_device_scalarIT1_EEPKiS7_PKS4_iiS9_lS5_PS4_l21rocsparse_index_base_b,@function
_ZN9rocsparseL31gebsrmm_general_blockdim_kernelILi32ELi32EfEEv20rocsparse_direction_20rocsparse_operation_iiNS_24const_host_device_scalarIT1_EEPKiS7_PKS4_iiS9_lS5_PS4_l21rocsparse_index_base_b: ; @_ZN9rocsparseL31gebsrmm_general_blockdim_kernelILi32ELi32EfEEv20rocsparse_direction_20rocsparse_operation_iiNS_24const_host_device_scalarIT1_EEPKiS7_PKS4_iiS9_lS5_PS4_l21rocsparse_index_base_b
; %bb.0:
	s_load_dwordx2 s[24:25], s[4:5], 0x60
	s_load_dwordx2 s[26:27], s[4:5], 0x10
	s_load_dwordx4 s[8:11], s[4:5], 0x40
	s_waitcnt lgkmcnt(0)
	s_bitcmp1_b32 s25, 0
	s_cselect_b64 s[2:3], -1, 0
	s_xor_b64 s[0:1], s[2:3], -1
	s_and_b64 vcc, exec, s[2:3]
	s_cbranch_vccnz .LBB0_2
; %bb.1:
	s_load_dword s26, s[26:27], 0x0
.LBB0_2:
	s_andn2_b64 vcc, exec, s[0:1]
	s_cbranch_vccnz .LBB0_4
; %bb.3:
	s_load_dword s10, s[10:11], 0x0
.LBB0_4:
	s_waitcnt lgkmcnt(0)
	v_cmp_eq_f32_e64 s[0:1], s26, 0
	v_cmp_eq_f32_e64 s[2:3], s10, 1.0
	s_and_b64 s[0:1], s[0:1], s[2:3]
	s_mov_b32 s11, 0
	s_and_b64 vcc, exec, s[0:1]
	s_cbranch_vccnz .LBB0_49
; %bb.5:
	s_load_dwordx4 s[16:19], s[4:5], 0x0
	s_mov_b32 s25, 0
	s_waitcnt lgkmcnt(0)
	s_cmp_lt_i32 s6, s18
	s_cselect_b64 s[2:3], -1, 0
	s_cmp_ge_i32 s6, s18
	s_cbranch_scc1 .LBB0_7
; %bb.6:
	s_load_dwordx2 s[12:13], s[4:5], 0x18
	s_mov_b32 s0, s7
	s_ashr_i32 s7, s6, 31
	s_lshl_b64 s[14:15], s[6:7], 2
	s_mov_b32 s7, s0
	s_waitcnt lgkmcnt(0)
	s_add_u32 s0, s12, s14
	s_addc_u32 s1, s13, s15
	s_load_dwordx2 s[0:1], s[0:1], 0x0
	s_waitcnt lgkmcnt(0)
	s_sub_i32 s11, s0, s24
	s_sub_i32 s25, s1, s24
.LBB0_7:
	s_load_dwordx2 s[28:29], s[4:5], 0x30
	s_waitcnt lgkmcnt(0)
	s_cmp_lt_i32 s28, 1
	s_cbranch_scc1 .LBB0_49
; %bb.8:
	s_load_dwordx4 s[20:23], s[4:5], 0x50
	s_load_dwordx4 s[12:15], s[4:5], 0x20
	s_load_dwordx2 s[30:31], s[4:5], 0x38
	v_and_b32_e32 v1, 0x3ff, v0
	v_bfe_u32 v0, v0, 10, 10
	v_lshl_add_u32 v2, s7, 5, v0
	v_ashrrev_i32_e32 v3, 31, v2
	s_waitcnt lgkmcnt(0)
	v_mul_lo_u32 v6, v3, s22
	v_mul_lo_u32 v7, v2, s23
	v_mad_u64_u32 v[4:5], s[0:1], v2, s22, 0
	v_add3_u32 v5, v5, v7, v6
	v_mul_lo_u32 v8, v3, s8
	v_mul_lo_u32 v9, v2, s9
	v_mad_u64_u32 v[6:7], s[0:1], v2, s8, 0
	v_add3_u32 v7, v7, v9, v8
	v_lshlrev_b64 v[8:9], 2, v[2:3]
	s_cmp_lt_i32 s11, s25
	v_mov_b32_e32 v13, s31
	v_add_co_u32_e32 v8, vcc, s30, v8
	v_cmp_gt_i32_e64 s[0:1], s19, v2
	v_lshlrev_b32_e32 v2, 5, v0
	s_cselect_b64 s[4:5], -1, 0
	v_addc_co_u32_e32 v9, vcc, v13, v9, vcc
	s_cmp_gt_i32 s29, 0
	v_add_lshl_u32 v10, v2, v1, 2
	v_lshlrev_b64 v[2:3], 2, v[6:7]
	s_mul_i32 s27, s6, s28
	s_cselect_b64 s[6:7], -1, 0
	s_cmpk_lg_i32 s17, 0x6f
	v_add_co_u32_e32 v12, vcc, s30, v2
	s_cselect_b64 s[22:23], -1, 0
	v_addc_co_u32_e32 v13, vcc, v13, v3, vcc
	s_cmp_lg_u32 s16, 0
	v_lshlrev_b64 v[2:3], 2, v[4:5]
	s_cselect_b64 s[16:17], -1, 0
	s_and_b64 s[18:19], s[2:3], s[0:1]
	v_add_co_u32_e32 v14, vcc, s20, v2
	v_mov_b32_e32 v2, 0x1000
	s_mul_i32 s2, s11, s28
	v_mov_b32_e32 v4, s21
	v_lshl_add_u32 v17, v0, 7, v2
	v_add_u32_e32 v2, s2, v1
	v_addc_co_u32_e32 v15, vcc, v4, v3, vcc
	v_mad_u64_u32 v[2:3], s[2:3], s29, v2, v[0:1]
	v_cndmask_b32_e64 v3, 0, 1, s[4:5]
	v_cmp_ne_u32_e64 s[2:3], 1, v3
	v_cndmask_b32_e64 v3, 0, 1, s[6:7]
	s_mov_b32 s33, 0
	v_add_u32_e32 v11, 0x1000, v10
	v_cmp_neq_f32_e64 s[30:31], s10, 0
	v_lshlrev_b32_e32 v16, 2, v1
	s_lshl_b32 s42, s29, 5
	s_mul_i32 s43, s29, s28
	v_cmp_ne_u32_e64 s[4:5], 1, v3
	s_branch .LBB0_10
.LBB0_9:                                ;   in Loop: Header=BB0_10 Depth=1
	s_or_b64 exec, exec, s[6:7]
	s_add_i32 s33, s33, 32
	s_cmp_lt_i32 s33, s28
	v_add_u32_e32 v2, s42, v2
	s_cbranch_scc0 .LBB0_49
.LBB0_10:                               ; =>This Loop Header: Depth=1
                                        ;     Child Loop BB0_13 Depth 2
                                        ;       Child Loop BB0_16 Depth 3
	v_add_u32_e32 v4, s33, v1
	s_and_b64 vcc, exec, s[2:3]
	v_mov_b32_e32 v3, 0
	v_cmp_gt_i32_e64 s[6:7], s28, v4
	s_cbranch_vccnz .LBB0_44
; %bb.11:                               ;   in Loop: Header=BB0_10 Depth=1
	v_mov_b32_e32 v3, 0
	v_mov_b32_e32 v5, v2
	s_mov_b32 s20, s11
	s_branch .LBB0_13
.LBB0_12:                               ;   in Loop: Header=BB0_13 Depth=2
	s_add_i32 s20, s20, 1
	s_cmp_ge_i32 s20, s25
	v_add_u32_e32 v5, s43, v5
	s_cbranch_scc1 .LBB0_44
.LBB0_13:                               ;   Parent Loop BB0_10 Depth=1
                                        ; =>  This Loop Header: Depth=2
                                        ;       Child Loop BB0_16 Depth 3
	s_and_b64 vcc, exec, s[4:5]
	s_cbranch_vccnz .LBB0_12
; %bb.14:                               ;   in Loop: Header=BB0_13 Depth=2
	s_ashr_i32 s21, s20, 31
	s_lshl_b64 s[34:35], s[20:21], 2
	s_add_u32 s34, s12, s34
	s_addc_u32 s35, s13, s35
	s_load_dword s34, s[34:35], 0x0
	s_mul_i32 s21, s20, s29
	s_mov_b32 s44, 0
	s_waitcnt lgkmcnt(0)
	s_sub_i32 s34, s34, s24
	s_mul_i32 s34, s34, s29
	v_add_u32_e32 v18, s34, v1
	s_branch .LBB0_16
.LBB0_15:                               ;   in Loop: Header=BB0_16 Depth=3
	s_or_b64 exec, exec, s[36:37]
	s_waitcnt vmcnt(0)
	ds_write_b32 v10, v7
	s_waitcnt lgkmcnt(0)
	s_barrier
	ds_read2_b32 v[6:7], v16 offset1:32
	ds_read_b128 v[20:23], v17
	ds_read_b128 v[24:27], v17 offset:16
	ds_read2_b32 v[36:37], v16 offset0:64 offset1:96
	ds_read_b128 v[28:31], v17 offset:32
	ds_read_b128 v[32:35], v17 offset:48
	ds_read2_b32 v[38:39], v16 offset0:128 offset1:160
	s_waitcnt lgkmcnt(5)
	v_fmac_f32_e32 v3, v6, v20
	v_fmac_f32_e32 v3, v7, v21
	ds_read2_b32 v[6:7], v16 offset0:192 offset1:224
	s_waitcnt lgkmcnt(4)
	v_fmac_f32_e32 v3, v36, v22
	v_fmac_f32_e32 v3, v37, v23
	s_waitcnt lgkmcnt(1)
	v_fmac_f32_e32 v3, v38, v24
	v_add_u32_e32 v19, 0x400, v16
	ds_read2_b32 v[20:21], v19 offset1:32
	v_fmac_f32_e32 v3, v39, v25
	s_waitcnt lgkmcnt(1)
	v_fmac_f32_e32 v3, v6, v26
	v_fmac_f32_e32 v3, v7, v27
	ds_read2_b32 v[6:7], v19 offset0:64 offset1:96
	ds_read2_b32 v[22:23], v19 offset0:128 offset1:160
	s_waitcnt lgkmcnt(2)
	v_fmac_f32_e32 v3, v20, v28
	v_fmac_f32_e32 v3, v21, v29
	ds_read2_b32 v[24:25], v19 offset0:192 offset1:224
	s_waitcnt lgkmcnt(2)
	v_fmac_f32_e32 v3, v6, v30
	v_fmac_f32_e32 v3, v7, v31
	s_waitcnt lgkmcnt(1)
	v_fmac_f32_e32 v3, v22, v32
	v_add_u32_e32 v19, 0x800, v16
	v_fmac_f32_e32 v3, v23, v33
	ds_read2_b32 v[6:7], v19 offset1:32
	ds_read_b128 v[20:23], v17 offset:64
	s_waitcnt lgkmcnt(2)
	v_fmac_f32_e32 v3, v24, v34
	v_fmac_f32_e32 v3, v25, v35
	ds_read2_b32 v[28:29], v19 offset0:64 offset1:96
	ds_read2_b32 v[30:31], v19 offset0:128 offset1:160
	ds_read_b128 v[24:27], v17 offset:80
	s_add_i32 s44, s44, 32
	s_waitcnt lgkmcnt(3)
	v_fmac_f32_e32 v3, v6, v20
	v_fmac_f32_e32 v3, v7, v21
	ds_read2_b32 v[6:7], v19 offset0:192 offset1:224
	s_waitcnt lgkmcnt(3)
	v_fmac_f32_e32 v3, v28, v22
	v_fmac_f32_e32 v3, v29, v23
	v_add_u32_e32 v19, 0xc00, v16
	s_waitcnt lgkmcnt(1)
	v_fmac_f32_e32 v3, v30, v24
	ds_read2_b32 v[28:29], v19 offset1:32
	ds_read_b128 v[20:23], v17 offset:96
	v_fmac_f32_e32 v3, v31, v25
	s_waitcnt lgkmcnt(2)
	v_fmac_f32_e32 v3, v6, v26
	v_fmac_f32_e32 v3, v7, v27
	ds_read2_b32 v[6:7], v19 offset0:64 offset1:96
	ds_read_b128 v[24:27], v17 offset:112
	ds_read2_b32 v[30:31], v19 offset0:128 offset1:160
	s_waitcnt lgkmcnt(3)
	v_fmac_f32_e32 v3, v28, v20
	v_fmac_f32_e32 v3, v29, v21
	ds_read2_b32 v[20:21], v19 offset0:192 offset1:224
	s_waitcnt lgkmcnt(3)
	v_fmac_f32_e32 v3, v6, v22
	v_fmac_f32_e32 v3, v7, v23
	s_waitcnt lgkmcnt(1)
	v_fmac_f32_e32 v3, v30, v24
	v_fmac_f32_e32 v3, v31, v25
	;; [unrolled: 3-line block ×3, first 2 shown]
	s_cmp_ge_i32 s44, s29
	s_barrier
	s_cbranch_scc1 .LBB0_12
.LBB0_16:                               ;   Parent Loop BB0_10 Depth=1
                                        ;     Parent Loop BB0_13 Depth=2
                                        ; =>    This Inner Loop Header: Depth=3
	s_and_b64 vcc, exec, s[22:23]
	s_cbranch_vccz .LBB0_22
; %bb.17:                               ;   in Loop: Header=BB0_16 Depth=3
	s_mov_b64 s[36:37], 0
	s_mov_b64 s[34:35], 0
                                        ; implicit-def: $vgpr6_vgpr7
	s_and_saveexec_b64 s[38:39], s[0:1]
	s_cbranch_execz .LBB0_21
; %bb.18:                               ;   in Loop: Header=BB0_16 Depth=3
	v_add_u32_e32 v6, s44, v1
	v_cmp_gt_i32_e32 vcc, s29, v6
                                        ; implicit-def: $vgpr6_vgpr7
	s_and_saveexec_b64 s[40:41], vcc
	s_xor_b64 s[40:41], exec, s[40:41]
; %bb.19:                               ;   in Loop: Header=BB0_16 Depth=3
	v_add_u32_e32 v6, s44, v18
	v_ashrrev_i32_e32 v7, 31, v6
	v_mul_lo_u32 v19, v7, s8
	v_mul_lo_u32 v20, v6, s9
	v_mad_u64_u32 v[6:7], s[46:47], v6, s8, 0
	v_add3_u32 v7, v7, v20, v19
	v_lshlrev_b64 v[6:7], 2, v[6:7]
	v_add_co_u32_e32 v6, vcc, v8, v6
	s_mov_b64 s[34:35], exec
	v_addc_co_u32_e32 v7, vcc, v9, v7, vcc
; %bb.20:                               ;   in Loop: Header=BB0_16 Depth=3
	s_or_b64 exec, exec, s[40:41]
	s_and_b64 s[34:35], s[34:35], exec
.LBB0_21:                               ;   in Loop: Header=BB0_16 Depth=3
	s_or_b64 exec, exec, s[38:39]
	s_mov_b32 s38, 0
	s_and_b64 vcc, exec, s[36:37]
	s_cbranch_vccnz .LBB0_23
	s_branch .LBB0_28
.LBB0_22:                               ;   in Loop: Header=BB0_16 Depth=3
	s_mov_b64 s[34:35], 0
                                        ; implicit-def: $vgpr6_vgpr7
                                        ; implicit-def: $sgpr38
	s_cbranch_execz .LBB0_28
.LBB0_23:                               ;   in Loop: Header=BB0_16 Depth=3
                                        ; implicit-def: $vgpr6_vgpr7
	s_and_saveexec_b64 s[36:37], s[0:1]
	s_cbranch_execz .LBB0_27
; %bb.24:                               ;   in Loop: Header=BB0_16 Depth=3
	v_add_u32_e32 v6, s44, v1
	v_cmp_gt_i32_e32 vcc, s29, v6
	s_mov_b64 s[40:41], s[34:35]
                                        ; implicit-def: $vgpr6_vgpr7
	s_and_saveexec_b64 s[38:39], vcc
; %bb.25:                               ;   in Loop: Header=BB0_16 Depth=3
	v_add_u32_e32 v6, s44, v18
	v_ashrrev_i32_e32 v7, 31, v6
	v_lshlrev_b64 v[6:7], 2, v[6:7]
	v_add_co_u32_e32 v6, vcc, v12, v6
	v_addc_co_u32_e32 v7, vcc, v13, v7, vcc
	s_or_b64 s[40:41], s[34:35], exec
; %bb.26:                               ;   in Loop: Header=BB0_16 Depth=3
	s_or_b64 exec, exec, s[38:39]
	s_andn2_b64 s[34:35], s[34:35], exec
	s_and_b64 s[38:39], s[40:41], exec
	s_or_b64 s[34:35], s[34:35], s[38:39]
.LBB0_27:                               ;   in Loop: Header=BB0_16 Depth=3
	s_or_b64 exec, exec, s[36:37]
	s_mov_b32 s38, 0
.LBB0_28:                               ;   in Loop: Header=BB0_16 Depth=3
	v_mov_b32_e32 v19, s38
	s_and_saveexec_b64 s[36:37], s[34:35]
	s_cbranch_execnz .LBB0_36
; %bb.29:                               ;   in Loop: Header=BB0_16 Depth=3
	s_or_b64 exec, exec, s[36:37]
	s_and_b64 vcc, exec, s[16:17]
	ds_write_b32 v11, v19
	s_cbranch_vccz .LBB0_37
.LBB0_30:                               ;   in Loop: Header=BB0_16 Depth=3
	s_mov_b64 s[36:37], 0
	s_mov_b64 s[34:35], 0
                                        ; implicit-def: $vgpr6
	s_and_saveexec_b64 s[38:39], s[6:7]
	s_cbranch_execz .LBB0_34
; %bb.31:                               ;   in Loop: Header=BB0_16 Depth=3
	v_add_u32_e32 v7, s44, v0
	v_cmp_gt_i32_e32 vcc, s29, v7
                                        ; implicit-def: $vgpr6
	s_and_saveexec_b64 s[40:41], vcc
	s_xor_b64 s[40:41], exec, s[40:41]
; %bb.32:                               ;   in Loop: Header=BB0_16 Depth=3
	v_add_u32_e32 v6, s21, v7
	s_mov_b64 s[34:35], exec
	v_mad_u64_u32 v[6:7], s[46:47], v6, s28, v[4:5]
; %bb.33:                               ;   in Loop: Header=BB0_16 Depth=3
	s_or_b64 exec, exec, s[40:41]
	s_and_b64 s[34:35], s[34:35], exec
.LBB0_34:                               ;   in Loop: Header=BB0_16 Depth=3
	s_or_b64 exec, exec, s[38:39]
	s_mov_b32 s38, 0
	s_and_b64 vcc, exec, s[36:37]
	s_cbranch_vccnz .LBB0_38
.LBB0_35:                               ;   in Loop: Header=BB0_16 Depth=3
	v_mov_b32_e32 v7, s38
	s_and_saveexec_b64 s[36:37], s[34:35]
	s_cbranch_execz .LBB0_15
	s_branch .LBB0_43
.LBB0_36:                               ;   in Loop: Header=BB0_16 Depth=3
	global_load_dword v19, v[6:7], off
	s_or_b64 exec, exec, s[36:37]
	s_and_b64 vcc, exec, s[16:17]
	s_waitcnt vmcnt(0)
	ds_write_b32 v11, v19
	s_cbranch_vccnz .LBB0_30
.LBB0_37:                               ;   in Loop: Header=BB0_16 Depth=3
	s_mov_b64 s[34:35], 0
                                        ; implicit-def: $vgpr6
                                        ; implicit-def: $sgpr38
	s_cbranch_execz .LBB0_35
.LBB0_38:                               ;   in Loop: Header=BB0_16 Depth=3
                                        ; implicit-def: $vgpr6
	s_and_saveexec_b64 s[36:37], s[6:7]
	s_cbranch_execz .LBB0_42
; %bb.39:                               ;   in Loop: Header=BB0_16 Depth=3
	v_add_u32_e32 v6, s44, v0
	v_cmp_gt_i32_e32 vcc, s29, v6
	s_mov_b64 s[38:39], s[34:35]
                                        ; implicit-def: $vgpr6
	s_and_saveexec_b64 s[40:41], vcc
; %bb.40:                               ;   in Loop: Header=BB0_16 Depth=3
	v_add_u32_e32 v6, s44, v5
	s_or_b64 s[38:39], s[34:35], exec
; %bb.41:                               ;   in Loop: Header=BB0_16 Depth=3
	s_or_b64 exec, exec, s[40:41]
	s_andn2_b64 s[34:35], s[34:35], exec
	s_and_b64 s[38:39], s[38:39], exec
	s_or_b64 s[34:35], s[34:35], s[38:39]
.LBB0_42:                               ;   in Loop: Header=BB0_16 Depth=3
	s_or_b64 exec, exec, s[36:37]
	s_mov_b32 s38, 0
	v_mov_b32_e32 v7, s38
	s_and_saveexec_b64 s[36:37], s[34:35]
	s_cbranch_execz .LBB0_15
.LBB0_43:                               ;   in Loop: Header=BB0_16 Depth=3
	v_ashrrev_i32_e32 v7, 31, v6
	v_lshlrev_b64 v[6:7], 2, v[6:7]
	v_mov_b32_e32 v19, s15
	v_add_co_u32_e32 v6, vcc, s14, v6
	v_addc_co_u32_e32 v7, vcc, v19, v7, vcc
	global_load_dword v7, v[6:7], off
	s_branch .LBB0_15
.LBB0_44:                               ;   in Loop: Header=BB0_10 Depth=1
	v_cmp_gt_i32_e32 vcc, s28, v4
	s_and_b64 s[20:21], s[18:19], vcc
	s_and_saveexec_b64 s[6:7], s[20:21]
	s_cbranch_execz .LBB0_9
; %bb.45:                               ;   in Loop: Header=BB0_10 Depth=1
	v_add_u32_e32 v4, s27, v4
	s_and_b64 vcc, exec, s[30:31]
	v_ashrrev_i32_e32 v5, 31, v4
	v_mul_f32_e32 v3, s26, v3
	s_cbranch_vccz .LBB0_47
; %bb.46:                               ;   in Loop: Header=BB0_10 Depth=1
	v_lshlrev_b64 v[6:7], 2, v[4:5]
	v_add_co_u32_e32 v6, vcc, v14, v6
	v_addc_co_u32_e32 v7, vcc, v15, v7, vcc
	global_load_dword v18, v[6:7], off
	s_waitcnt vmcnt(0)
	v_fma_f32 v18, s10, v18, v3
	global_store_dword v[6:7], v18, off
	s_cbranch_execnz .LBB0_9
	s_branch .LBB0_48
.LBB0_47:                               ;   in Loop: Header=BB0_10 Depth=1
.LBB0_48:                               ;   in Loop: Header=BB0_10 Depth=1
	v_lshlrev_b64 v[4:5], 2, v[4:5]
	v_add_co_u32_e32 v4, vcc, v14, v4
	v_addc_co_u32_e32 v5, vcc, v15, v5, vcc
	global_store_dword v[4:5], v3, off
	s_branch .LBB0_9
.LBB0_49:
	s_endpgm
	.section	.rodata,"a",@progbits
	.p2align	6, 0x0
	.amdhsa_kernel _ZN9rocsparseL31gebsrmm_general_blockdim_kernelILi32ELi32EfEEv20rocsparse_direction_20rocsparse_operation_iiNS_24const_host_device_scalarIT1_EEPKiS7_PKS4_iiS9_lS5_PS4_l21rocsparse_index_base_b
		.amdhsa_group_segment_fixed_size 8192
		.amdhsa_private_segment_fixed_size 0
		.amdhsa_kernarg_size 104
		.amdhsa_user_sgpr_count 6
		.amdhsa_user_sgpr_private_segment_buffer 1
		.amdhsa_user_sgpr_dispatch_ptr 0
		.amdhsa_user_sgpr_queue_ptr 0
		.amdhsa_user_sgpr_kernarg_segment_ptr 1
		.amdhsa_user_sgpr_dispatch_id 0
		.amdhsa_user_sgpr_flat_scratch_init 0
		.amdhsa_user_sgpr_kernarg_preload_length 0
		.amdhsa_user_sgpr_kernarg_preload_offset 0
		.amdhsa_user_sgpr_private_segment_size 0
		.amdhsa_uses_dynamic_stack 0
		.amdhsa_system_sgpr_private_segment_wavefront_offset 0
		.amdhsa_system_sgpr_workgroup_id_x 1
		.amdhsa_system_sgpr_workgroup_id_y 1
		.amdhsa_system_sgpr_workgroup_id_z 0
		.amdhsa_system_sgpr_workgroup_info 0
		.amdhsa_system_vgpr_workitem_id 1
		.amdhsa_next_free_vgpr 40
		.amdhsa_next_free_sgpr 48
		.amdhsa_accum_offset 40
		.amdhsa_reserve_vcc 1
		.amdhsa_reserve_flat_scratch 0
		.amdhsa_float_round_mode_32 0
		.amdhsa_float_round_mode_16_64 0
		.amdhsa_float_denorm_mode_32 3
		.amdhsa_float_denorm_mode_16_64 3
		.amdhsa_dx10_clamp 1
		.amdhsa_ieee_mode 1
		.amdhsa_fp16_overflow 0
		.amdhsa_tg_split 0
		.amdhsa_exception_fp_ieee_invalid_op 0
		.amdhsa_exception_fp_denorm_src 0
		.amdhsa_exception_fp_ieee_div_zero 0
		.amdhsa_exception_fp_ieee_overflow 0
		.amdhsa_exception_fp_ieee_underflow 0
		.amdhsa_exception_fp_ieee_inexact 0
		.amdhsa_exception_int_div_zero 0
	.end_amdhsa_kernel
	.section	.text._ZN9rocsparseL31gebsrmm_general_blockdim_kernelILi32ELi32EfEEv20rocsparse_direction_20rocsparse_operation_iiNS_24const_host_device_scalarIT1_EEPKiS7_PKS4_iiS9_lS5_PS4_l21rocsparse_index_base_b,"axG",@progbits,_ZN9rocsparseL31gebsrmm_general_blockdim_kernelILi32ELi32EfEEv20rocsparse_direction_20rocsparse_operation_iiNS_24const_host_device_scalarIT1_EEPKiS7_PKS4_iiS9_lS5_PS4_l21rocsparse_index_base_b,comdat
.Lfunc_end0:
	.size	_ZN9rocsparseL31gebsrmm_general_blockdim_kernelILi32ELi32EfEEv20rocsparse_direction_20rocsparse_operation_iiNS_24const_host_device_scalarIT1_EEPKiS7_PKS4_iiS9_lS5_PS4_l21rocsparse_index_base_b, .Lfunc_end0-_ZN9rocsparseL31gebsrmm_general_blockdim_kernelILi32ELi32EfEEv20rocsparse_direction_20rocsparse_operation_iiNS_24const_host_device_scalarIT1_EEPKiS7_PKS4_iiS9_lS5_PS4_l21rocsparse_index_base_b
                                        ; -- End function
	.section	.AMDGPU.csdata,"",@progbits
; Kernel info:
; codeLenInByte = 1732
; NumSgprs: 52
; NumVgprs: 40
; NumAgprs: 0
; TotalNumVgprs: 40
; ScratchSize: 0
; MemoryBound: 0
; FloatMode: 240
; IeeeMode: 1
; LDSByteSize: 8192 bytes/workgroup (compile time only)
; SGPRBlocks: 6
; VGPRBlocks: 4
; NumSGPRsForWavesPerEU: 52
; NumVGPRsForWavesPerEU: 40
; AccumOffset: 40
; Occupancy: 8
; WaveLimiterHint : 0
; COMPUTE_PGM_RSRC2:SCRATCH_EN: 0
; COMPUTE_PGM_RSRC2:USER_SGPR: 6
; COMPUTE_PGM_RSRC2:TRAP_HANDLER: 0
; COMPUTE_PGM_RSRC2:TGID_X_EN: 1
; COMPUTE_PGM_RSRC2:TGID_Y_EN: 1
; COMPUTE_PGM_RSRC2:TGID_Z_EN: 0
; COMPUTE_PGM_RSRC2:TIDIG_COMP_CNT: 1
; COMPUTE_PGM_RSRC3_GFX90A:ACCUM_OFFSET: 9
; COMPUTE_PGM_RSRC3_GFX90A:TG_SPLIT: 0
	.section	.text._ZN9rocsparseL31gebsrmm_general_blockdim_kernelILi32ELi32EdEEv20rocsparse_direction_20rocsparse_operation_iiNS_24const_host_device_scalarIT1_EEPKiS7_PKS4_iiS9_lS5_PS4_l21rocsparse_index_base_b,"axG",@progbits,_ZN9rocsparseL31gebsrmm_general_blockdim_kernelILi32ELi32EdEEv20rocsparse_direction_20rocsparse_operation_iiNS_24const_host_device_scalarIT1_EEPKiS7_PKS4_iiS9_lS5_PS4_l21rocsparse_index_base_b,comdat
	.globl	_ZN9rocsparseL31gebsrmm_general_blockdim_kernelILi32ELi32EdEEv20rocsparse_direction_20rocsparse_operation_iiNS_24const_host_device_scalarIT1_EEPKiS7_PKS4_iiS9_lS5_PS4_l21rocsparse_index_base_b ; -- Begin function _ZN9rocsparseL31gebsrmm_general_blockdim_kernelILi32ELi32EdEEv20rocsparse_direction_20rocsparse_operation_iiNS_24const_host_device_scalarIT1_EEPKiS7_PKS4_iiS9_lS5_PS4_l21rocsparse_index_base_b
	.p2align	8
	.type	_ZN9rocsparseL31gebsrmm_general_blockdim_kernelILi32ELi32EdEEv20rocsparse_direction_20rocsparse_operation_iiNS_24const_host_device_scalarIT1_EEPKiS7_PKS4_iiS9_lS5_PS4_l21rocsparse_index_base_b,@function
_ZN9rocsparseL31gebsrmm_general_blockdim_kernelILi32ELi32EdEEv20rocsparse_direction_20rocsparse_operation_iiNS_24const_host_device_scalarIT1_EEPKiS7_PKS4_iiS9_lS5_PS4_l21rocsparse_index_base_b: ; @_ZN9rocsparseL31gebsrmm_general_blockdim_kernelILi32ELi32EdEEv20rocsparse_direction_20rocsparse_operation_iiNS_24const_host_device_scalarIT1_EEPKiS7_PKS4_iiS9_lS5_PS4_l21rocsparse_index_base_b
; %bb.0:
	s_load_dwordx2 s[24:25], s[4:5], 0x60
	s_load_dwordx2 s[2:3], s[4:5], 0x10
	s_load_dwordx4 s[12:15], s[4:5], 0x40
	s_waitcnt lgkmcnt(0)
	s_bitcmp1_b32 s25, 0
	s_cselect_b64 s[8:9], -1, 0
	s_xor_b64 s[0:1], s[8:9], -1
	s_and_b64 vcc, exec, s[8:9]
	v_pk_mov_b32 v[2:3], s[2:3], s[2:3] op_sel:[0,1]
	s_cbranch_vccnz .LBB1_2
; %bb.1:
	v_pk_mov_b32 v[2:3], s[2:3], s[2:3] op_sel:[0,1]
	flat_load_dwordx2 v[2:3], v[2:3]
.LBB1_2:
	s_andn2_b64 vcc, exec, s[0:1]
	v_pk_mov_b32 v[4:5], s[14:15], s[14:15] op_sel:[0,1]
	s_cbranch_vccnz .LBB1_4
; %bb.3:
	v_pk_mov_b32 v[4:5], s[14:15], s[14:15] op_sel:[0,1]
	flat_load_dwordx2 v[4:5], v[4:5]
.LBB1_4:
	s_waitcnt vmcnt(0) lgkmcnt(0)
	v_cmp_neq_f64_e32 vcc, 0, v[2:3]
	v_cmp_neq_f64_e64 s[0:1], 1.0, v[4:5]
	s_or_b64 s[0:1], vcc, s[0:1]
	s_and_saveexec_b64 s[2:3], s[0:1]
	s_cbranch_execz .LBB1_49
; %bb.5:
	s_load_dwordx4 s[8:11], s[4:5], 0x0
	s_mov_b32 s25, 0
	s_mov_b32 s33, 0
	s_waitcnt lgkmcnt(0)
	s_cmp_lt_i32 s6, s10
	s_cselect_b64 s[2:3], -1, 0
	s_cmp_ge_i32 s6, s10
	s_cbranch_scc1 .LBB1_7
; %bb.6:
	s_load_dwordx2 s[14:15], s[4:5], 0x18
	s_mov_b32 s0, s7
	s_ashr_i32 s7, s6, 31
	s_lshl_b64 s[16:17], s[6:7], 2
	s_mov_b32 s7, s0
	s_waitcnt lgkmcnt(0)
	s_add_u32 s0, s14, s16
	s_addc_u32 s1, s15, s17
	s_load_dwordx2 s[0:1], s[0:1], 0x0
	s_waitcnt lgkmcnt(0)
	s_sub_i32 s25, s0, s24
	s_sub_i32 s33, s1, s24
.LBB1_7:
	s_load_dwordx2 s[14:15], s[4:5], 0x30
	s_waitcnt lgkmcnt(0)
	s_cmp_lt_i32 s14, 1
	s_cbranch_scc1 .LBB1_49
; %bb.8:
	s_load_dwordx4 s[20:23], s[4:5], 0x50
	s_load_dwordx4 s[16:19], s[4:5], 0x20
	s_load_dwordx2 s[26:27], s[4:5], 0x38
	v_and_b32_e32 v1, 0x3ff, v0
	v_bfe_u32 v0, v0, 10, 10
	v_lshl_add_u32 v6, s7, 5, v0
	v_ashrrev_i32_e32 v7, 31, v6
	s_waitcnt lgkmcnt(0)
	v_mul_lo_u32 v10, v7, s22
	v_mul_lo_u32 v11, v6, s23
	v_mad_u64_u32 v[8:9], s[0:1], v6, s22, 0
	v_add3_u32 v9, v9, v11, v10
	v_mul_lo_u32 v12, v7, s12
	v_mul_lo_u32 v13, v6, s13
	v_mad_u64_u32 v[10:11], s[0:1], v6, s12, 0
	v_add3_u32 v11, v11, v13, v12
	v_lshlrev_b64 v[12:13], 3, v[6:7]
	v_mov_b32_e32 v14, s27
	v_add_co_u32_e32 v16, vcc, s26, v12
	v_cmp_gt_i32_e64 s[0:1], s11, v6
	v_lshlrev_b32_e32 v6, 5, v0
	s_cmp_lt_i32 s25, s33
	v_addc_co_u32_e32 v17, vcc, v14, v13, vcc
	v_add_lshl_u32 v18, v6, v1, 3
	v_lshlrev_b64 v[6:7], 3, v[10:11]
	s_cselect_b64 s[4:5], -1, 0
	s_cmp_gt_i32 s15, 0
	v_add_co_u32_e32 v20, vcc, s26, v6
	s_mul_i32 s38, s6, s14
	s_cselect_b64 s[6:7], -1, 0
	s_cmpk_lg_i32 s9, 0x6f
	v_addc_co_u32_e32 v21, vcc, v14, v7, vcc
	v_lshlrev_b64 v[6:7], 3, v[8:9]
	s_cselect_b64 s[22:23], -1, 0
	s_cmp_lg_u32 s8, 0
	v_add_co_u32_e32 v22, vcc, s20, v6
	v_mov_b32_e32 v6, 0x2000
	s_mul_i32 s8, s25, s14
	v_mov_b32_e32 v8, s21
	v_lshl_add_u32 v25, v0, 8, v6
	v_add_u32_e32 v6, s8, v1
	v_addc_co_u32_e32 v23, vcc, v8, v7, vcc
	v_mad_u64_u32 v[6:7], s[8:9], s15, v6, v[0:1]
	v_cndmask_b32_e64 v7, 0, 1, s[4:5]
	v_cmp_ne_u32_e64 s[4:5], 1, v7
	v_cndmask_b32_e64 v7, 0, 1, s[6:7]
	s_mov_b32 s39, 0
	v_add_u32_e32 v19, 0x2000, v18
	s_cselect_b64 s[10:11], -1, 0
	s_and_b64 s[26:27], s[2:3], s[0:1]
	v_cmp_neq_f64_e64 s[2:3], 0, v[4:5]
	v_lshlrev_b32_e32 v24, 3, v1
	s_lshl_b32 s40, s15, 5
	s_mul_i32 s41, s15, s14
	v_cmp_ne_u32_e64 s[6:7], 1, v7
	s_branch .LBB1_10
.LBB1_9:                                ;   in Loop: Header=BB1_10 Depth=1
	s_or_b64 exec, exec, s[8:9]
	s_add_i32 s39, s39, 32
	s_cmp_lt_i32 s39, s14
	v_add_u32_e32 v6, s40, v6
	s_cbranch_scc0 .LBB1_49
.LBB1_10:                               ; =>This Loop Header: Depth=1
                                        ;     Child Loop BB1_13 Depth 2
                                        ;       Child Loop BB1_16 Depth 3
	v_add_u32_e32 v10, s39, v1
	s_and_b64 vcc, exec, s[4:5]
	v_pk_mov_b32 v[8:9], 0, 0
	v_cmp_gt_i32_e64 s[8:9], s14, v10
	s_cbranch_vccnz .LBB1_44
; %bb.11:                               ;   in Loop: Header=BB1_10 Depth=1
	v_pk_mov_b32 v[8:9], 0, 0
	v_mov_b32_e32 v7, v6
	s_mov_b32 s20, s25
	s_branch .LBB1_13
.LBB1_12:                               ;   in Loop: Header=BB1_13 Depth=2
	s_add_i32 s20, s20, 1
	s_cmp_ge_i32 s20, s33
	v_add_u32_e32 v7, s41, v7
	s_cbranch_scc1 .LBB1_44
.LBB1_13:                               ;   Parent Loop BB1_10 Depth=1
                                        ; =>  This Loop Header: Depth=2
                                        ;       Child Loop BB1_16 Depth 3
	s_and_b64 vcc, exec, s[6:7]
	s_cbranch_vccnz .LBB1_12
; %bb.14:                               ;   in Loop: Header=BB1_13 Depth=2
	s_ashr_i32 s21, s20, 31
	s_lshl_b64 s[28:29], s[20:21], 2
	s_add_u32 s28, s16, s28
	s_addc_u32 s29, s17, s29
	s_load_dword s28, s[28:29], 0x0
	s_mul_i32 s21, s20, s15
	s_mov_b32 s42, 0
	s_waitcnt lgkmcnt(0)
	s_sub_i32 s28, s28, s24
	s_mul_i32 s28, s28, s15
	v_add_u32_e32 v11, s28, v1
	s_branch .LBB1_16
.LBB1_15:                               ;   in Loop: Header=BB1_16 Depth=3
	s_or_b64 exec, exec, s[30:31]
	s_waitcnt vmcnt(0)
	ds_write_b64 v18, v[14:15]
	s_waitcnt lgkmcnt(0)
	s_barrier
	ds_read2_b64 v[12:15], v24 offset1:32
	ds_read_b128 v[26:29], v25
	ds_read_b128 v[30:33], v25 offset:16
	ds_read2_b64 v[34:37], v24 offset0:64 offset1:96
	ds_read_b128 v[38:41], v25 offset:32
	ds_read_b128 v[42:45], v25 offset:48
	ds_read2_b64 v[46:49], v24 offset0:128 offset1:160
	s_waitcnt lgkmcnt(5)
	v_fmac_f64_e32 v[8:9], v[12:13], v[26:27]
	v_fmac_f64_e32 v[8:9], v[14:15], v[28:29]
	ds_read2_b64 v[12:15], v24 offset0:192 offset1:224
	s_waitcnt lgkmcnt(4)
	v_fmac_f64_e32 v[8:9], v[34:35], v[30:31]
	v_fmac_f64_e32 v[8:9], v[36:37], v[32:33]
	s_waitcnt lgkmcnt(1)
	v_fmac_f64_e32 v[8:9], v[46:47], v[38:39]
	v_add_u32_e32 v46, 0x800, v24
	v_fmac_f64_e32 v[8:9], v[48:49], v[40:41]
	ds_read2_b64 v[26:29], v46 offset1:32
	ds_read_b128 v[30:33], v25 offset:64
	s_waitcnt lgkmcnt(2)
	v_fmac_f64_e32 v[8:9], v[12:13], v[42:43]
	v_fmac_f64_e32 v[8:9], v[14:15], v[44:45]
	ds_read2_b64 v[12:15], v46 offset0:64 offset1:96
	ds_read_b128 v[34:37], v25 offset:80
	ds_read2_b64 v[38:41], v46 offset0:128 offset1:160
	ds_read_b128 v[42:45], v25 offset:96
	s_waitcnt lgkmcnt(4)
	v_fmac_f64_e32 v[8:9], v[26:27], v[30:31]
	v_fmac_f64_e32 v[8:9], v[28:29], v[32:33]
	ds_read2_b64 v[26:29], v46 offset0:192 offset1:224
	s_waitcnt lgkmcnt(3)
	v_fmac_f64_e32 v[8:9], v[12:13], v[34:35]
	v_fmac_f64_e32 v[8:9], v[14:15], v[36:37]
	ds_read_b128 v[12:15], v25 offset:112
	s_waitcnt lgkmcnt(2)
	v_fmac_f64_e32 v[8:9], v[38:39], v[42:43]
	v_add_u32_e32 v46, 0x1000, v24
	v_fmac_f64_e32 v[8:9], v[40:41], v[44:45]
	ds_read2_b64 v[30:33], v46 offset1:32
	ds_read_b128 v[34:37], v25 offset:128
	s_waitcnt lgkmcnt(2)
	v_fmac_f64_e32 v[8:9], v[26:27], v[12:13]
	v_fmac_f64_e32 v[8:9], v[28:29], v[14:15]
	ds_read2_b64 v[12:15], v46 offset0:64 offset1:96
	ds_read_b128 v[26:29], v25 offset:144
	ds_read2_b64 v[38:41], v46 offset0:128 offset1:160
	ds_read_b128 v[42:45], v25 offset:160
	s_waitcnt lgkmcnt(4)
	v_fmac_f64_e32 v[8:9], v[30:31], v[34:35]
	v_fmac_f64_e32 v[8:9], v[32:33], v[36:37]
	s_add_i32 s42, s42, 32
	s_waitcnt lgkmcnt(2)
	v_fmac_f64_e32 v[8:9], v[12:13], v[26:27]
	v_fmac_f64_e32 v[8:9], v[14:15], v[28:29]
	ds_read_b128 v[12:15], v25 offset:176
	ds_read2_b64 v[26:29], v46 offset0:192 offset1:224
	s_waitcnt lgkmcnt(2)
	v_fmac_f64_e32 v[8:9], v[38:39], v[42:43]
	v_add_u32_e32 v38, 0x1800, v24
	ds_read2_b64 v[30:33], v38 offset1:32
	ds_read_b128 v[34:37], v25 offset:192
	v_fmac_f64_e32 v[8:9], v[40:41], v[44:45]
	s_waitcnt lgkmcnt(2)
	v_fmac_f64_e32 v[8:9], v[26:27], v[12:13]
	v_fmac_f64_e32 v[8:9], v[28:29], v[14:15]
	ds_read_b128 v[12:15], v25 offset:208
	s_waitcnt lgkmcnt(1)
	v_fmac_f64_e32 v[8:9], v[30:31], v[34:35]
	v_fmac_f64_e32 v[8:9], v[32:33], v[36:37]
	ds_read2_b64 v[26:29], v38 offset0:64 offset1:96
	ds_read2_b64 v[30:33], v38 offset0:128 offset1:160
	ds_read_b128 v[34:37], v25 offset:224
	ds_read2_b64 v[38:41], v38 offset0:192 offset1:224
	ds_read_b128 v[42:45], v25 offset:240
	s_cmp_ge_i32 s42, s15
	s_waitcnt lgkmcnt(4)
	v_fmac_f64_e32 v[8:9], v[26:27], v[12:13]
	v_fmac_f64_e32 v[8:9], v[28:29], v[14:15]
	s_waitcnt lgkmcnt(2)
	v_fmac_f64_e32 v[8:9], v[30:31], v[34:35]
	v_fmac_f64_e32 v[8:9], v[32:33], v[36:37]
	;; [unrolled: 3-line block ×3, first 2 shown]
	s_barrier
	s_cbranch_scc1 .LBB1_12
.LBB1_16:                               ;   Parent Loop BB1_10 Depth=1
                                        ;     Parent Loop BB1_13 Depth=2
                                        ; =>    This Inner Loop Header: Depth=3
	s_and_b64 vcc, exec, s[22:23]
	s_cbranch_vccz .LBB1_22
; %bb.17:                               ;   in Loop: Header=BB1_16 Depth=3
	s_mov_b64 s[30:31], 0
	s_mov_b64 s[28:29], 0
                                        ; implicit-def: $vgpr12_vgpr13
	s_and_saveexec_b64 s[34:35], s[0:1]
	s_cbranch_execz .LBB1_21
; %bb.18:                               ;   in Loop: Header=BB1_16 Depth=3
	v_add_u32_e32 v12, s42, v1
	v_cmp_gt_i32_e32 vcc, s15, v12
                                        ; implicit-def: $vgpr12_vgpr13
	s_and_saveexec_b64 s[36:37], vcc
	s_xor_b64 s[36:37], exec, s[36:37]
; %bb.19:                               ;   in Loop: Header=BB1_16 Depth=3
	v_add_u32_e32 v12, s42, v11
	v_ashrrev_i32_e32 v13, 31, v12
	v_mul_lo_u32 v14, v13, s12
	v_mul_lo_u32 v15, v12, s13
	v_mad_u64_u32 v[12:13], s[44:45], v12, s12, 0
	v_add3_u32 v13, v13, v15, v14
	v_lshlrev_b64 v[12:13], 3, v[12:13]
	v_add_co_u32_e32 v12, vcc, v16, v12
	s_mov_b64 s[28:29], exec
	v_addc_co_u32_e32 v13, vcc, v17, v13, vcc
; %bb.20:                               ;   in Loop: Header=BB1_16 Depth=3
	s_or_b64 exec, exec, s[36:37]
	s_and_b64 s[28:29], s[28:29], exec
.LBB1_21:                               ;   in Loop: Header=BB1_16 Depth=3
	s_or_b64 exec, exec, s[34:35]
	s_and_b64 vcc, exec, s[30:31]
	s_cbranch_vccnz .LBB1_23
	s_branch .LBB1_28
.LBB1_22:                               ;   in Loop: Header=BB1_16 Depth=3
	s_mov_b64 s[30:31], -1
	s_mov_b64 s[28:29], 0
                                        ; implicit-def: $vgpr12_vgpr13
	s_cbranch_execz .LBB1_28
.LBB1_23:                               ;   in Loop: Header=BB1_16 Depth=3
                                        ; implicit-def: $vgpr12_vgpr13
	s_and_saveexec_b64 s[30:31], s[0:1]
	s_cbranch_execz .LBB1_27
; %bb.24:                               ;   in Loop: Header=BB1_16 Depth=3
	v_add_u32_e32 v12, s42, v1
	v_cmp_gt_i32_e32 vcc, s15, v12
	s_mov_b64 s[36:37], s[28:29]
                                        ; implicit-def: $vgpr12_vgpr13
	s_and_saveexec_b64 s[34:35], vcc
; %bb.25:                               ;   in Loop: Header=BB1_16 Depth=3
	v_add_u32_e32 v12, s42, v11
	v_ashrrev_i32_e32 v13, 31, v12
	v_lshlrev_b64 v[12:13], 3, v[12:13]
	v_add_co_u32_e32 v12, vcc, v20, v12
	v_addc_co_u32_e32 v13, vcc, v21, v13, vcc
	s_or_b64 s[36:37], s[28:29], exec
; %bb.26:                               ;   in Loop: Header=BB1_16 Depth=3
	s_or_b64 exec, exec, s[34:35]
	s_andn2_b64 s[28:29], s[28:29], exec
	s_and_b64 s[34:35], s[36:37], exec
	s_or_b64 s[28:29], s[28:29], s[34:35]
.LBB1_27:                               ;   in Loop: Header=BB1_16 Depth=3
	s_or_b64 exec, exec, s[30:31]
	s_mov_b64 s[30:31], 0
.LBB1_28:                               ;   in Loop: Header=BB1_16 Depth=3
	v_pk_mov_b32 v[14:15], s[30:31], s[30:31] op_sel:[0,1]
	s_and_saveexec_b64 s[30:31], s[28:29]
	s_cbranch_execnz .LBB1_36
; %bb.29:                               ;   in Loop: Header=BB1_16 Depth=3
	s_or_b64 exec, exec, s[30:31]
	s_and_b64 vcc, exec, s[10:11]
	ds_write_b64 v19, v[14:15]
	s_cbranch_vccz .LBB1_37
.LBB1_30:                               ;   in Loop: Header=BB1_16 Depth=3
	s_mov_b64 s[30:31], 0
	s_mov_b64 s[28:29], 0
                                        ; implicit-def: $vgpr12
	s_and_saveexec_b64 s[34:35], s[8:9]
	s_cbranch_execz .LBB1_34
; %bb.31:                               ;   in Loop: Header=BB1_16 Depth=3
	v_add_u32_e32 v13, s42, v0
	v_cmp_gt_i32_e32 vcc, s15, v13
                                        ; implicit-def: $vgpr12
	s_and_saveexec_b64 s[36:37], vcc
	s_xor_b64 s[36:37], exec, s[36:37]
; %bb.32:                               ;   in Loop: Header=BB1_16 Depth=3
	v_add_u32_e32 v12, s21, v13
	s_mov_b64 s[28:29], exec
	v_mad_u64_u32 v[12:13], s[44:45], v12, s14, v[10:11]
; %bb.33:                               ;   in Loop: Header=BB1_16 Depth=3
	s_or_b64 exec, exec, s[36:37]
	s_and_b64 s[28:29], s[28:29], exec
.LBB1_34:                               ;   in Loop: Header=BB1_16 Depth=3
	s_or_b64 exec, exec, s[34:35]
	s_and_b64 vcc, exec, s[30:31]
	s_cbranch_vccnz .LBB1_38
.LBB1_35:                               ;   in Loop: Header=BB1_16 Depth=3
	v_pk_mov_b32 v[14:15], s[30:31], s[30:31] op_sel:[0,1]
	s_and_saveexec_b64 s[30:31], s[28:29]
	s_cbranch_execz .LBB1_15
	s_branch .LBB1_43
.LBB1_36:                               ;   in Loop: Header=BB1_16 Depth=3
	global_load_dwordx2 v[14:15], v[12:13], off
	s_or_b64 exec, exec, s[30:31]
	s_and_b64 vcc, exec, s[10:11]
	s_waitcnt vmcnt(0)
	ds_write_b64 v19, v[14:15]
	s_cbranch_vccnz .LBB1_30
.LBB1_37:                               ;   in Loop: Header=BB1_16 Depth=3
	s_mov_b64 s[30:31], -1
	s_mov_b64 s[28:29], 0
                                        ; implicit-def: $vgpr12
	s_cbranch_execz .LBB1_35
.LBB1_38:                               ;   in Loop: Header=BB1_16 Depth=3
                                        ; implicit-def: $vgpr12
	s_and_saveexec_b64 s[30:31], s[8:9]
	s_cbranch_execz .LBB1_42
; %bb.39:                               ;   in Loop: Header=BB1_16 Depth=3
	v_add_u32_e32 v12, s42, v0
	v_cmp_gt_i32_e32 vcc, s15, v12
	s_mov_b64 s[34:35], s[28:29]
                                        ; implicit-def: $vgpr12
	s_and_saveexec_b64 s[36:37], vcc
; %bb.40:                               ;   in Loop: Header=BB1_16 Depth=3
	v_add_u32_e32 v12, s42, v7
	s_or_b64 s[34:35], s[28:29], exec
; %bb.41:                               ;   in Loop: Header=BB1_16 Depth=3
	s_or_b64 exec, exec, s[36:37]
	s_andn2_b64 s[28:29], s[28:29], exec
	s_and_b64 s[34:35], s[34:35], exec
	s_or_b64 s[28:29], s[28:29], s[34:35]
.LBB1_42:                               ;   in Loop: Header=BB1_16 Depth=3
	s_or_b64 exec, exec, s[30:31]
	s_mov_b64 s[30:31], 0
	v_pk_mov_b32 v[14:15], s[30:31], s[30:31] op_sel:[0,1]
	s_and_saveexec_b64 s[30:31], s[28:29]
	s_cbranch_execz .LBB1_15
.LBB1_43:                               ;   in Loop: Header=BB1_16 Depth=3
	v_ashrrev_i32_e32 v13, 31, v12
	v_lshlrev_b64 v[12:13], 3, v[12:13]
	v_mov_b32_e32 v14, s19
	v_add_co_u32_e32 v12, vcc, s18, v12
	v_addc_co_u32_e32 v13, vcc, v14, v13, vcc
	global_load_dwordx2 v[14:15], v[12:13], off
	s_branch .LBB1_15
.LBB1_44:                               ;   in Loop: Header=BB1_10 Depth=1
	v_cmp_gt_i32_e32 vcc, s14, v10
	s_and_b64 s[20:21], s[26:27], vcc
	s_and_saveexec_b64 s[8:9], s[20:21]
	s_cbranch_execz .LBB1_9
; %bb.45:                               ;   in Loop: Header=BB1_10 Depth=1
	v_add_u32_e32 v10, s38, v10
	s_and_saveexec_b64 s[20:21], s[2:3]
	s_xor_b64 s[20:21], exec, s[20:21]
	s_cbranch_execz .LBB1_47
; %bb.46:                               ;   in Loop: Header=BB1_10 Depth=1
	v_ashrrev_i32_e32 v11, 31, v10
	v_lshlrev_b64 v[10:11], 3, v[10:11]
	v_add_co_u32_e32 v10, vcc, v22, v10
	v_addc_co_u32_e32 v11, vcc, v23, v11, vcc
	global_load_dwordx2 v[12:13], v[10:11], off
	v_mul_f64 v[8:9], v[2:3], v[8:9]
	s_waitcnt vmcnt(0)
	v_fmac_f64_e32 v[8:9], v[4:5], v[12:13]
	global_store_dwordx2 v[10:11], v[8:9], off
                                        ; implicit-def: $vgpr8_vgpr9
                                        ; implicit-def: $vgpr10
.LBB1_47:                               ;   in Loop: Header=BB1_10 Depth=1
	s_andn2_saveexec_b64 s[20:21], s[20:21]
	s_cbranch_execz .LBB1_9
; %bb.48:                               ;   in Loop: Header=BB1_10 Depth=1
	v_ashrrev_i32_e32 v11, 31, v10
	v_lshlrev_b64 v[10:11], 3, v[10:11]
	v_add_co_u32_e32 v10, vcc, v22, v10
	v_mul_f64 v[8:9], v[2:3], v[8:9]
	v_addc_co_u32_e32 v11, vcc, v23, v11, vcc
	global_store_dwordx2 v[10:11], v[8:9], off
	s_branch .LBB1_9
.LBB1_49:
	s_endpgm
	.section	.rodata,"a",@progbits
	.p2align	6, 0x0
	.amdhsa_kernel _ZN9rocsparseL31gebsrmm_general_blockdim_kernelILi32ELi32EdEEv20rocsparse_direction_20rocsparse_operation_iiNS_24const_host_device_scalarIT1_EEPKiS7_PKS4_iiS9_lS5_PS4_l21rocsparse_index_base_b
		.amdhsa_group_segment_fixed_size 16384
		.amdhsa_private_segment_fixed_size 0
		.amdhsa_kernarg_size 104
		.amdhsa_user_sgpr_count 6
		.amdhsa_user_sgpr_private_segment_buffer 1
		.amdhsa_user_sgpr_dispatch_ptr 0
		.amdhsa_user_sgpr_queue_ptr 0
		.amdhsa_user_sgpr_kernarg_segment_ptr 1
		.amdhsa_user_sgpr_dispatch_id 0
		.amdhsa_user_sgpr_flat_scratch_init 0
		.amdhsa_user_sgpr_kernarg_preload_length 0
		.amdhsa_user_sgpr_kernarg_preload_offset 0
		.amdhsa_user_sgpr_private_segment_size 0
		.amdhsa_uses_dynamic_stack 0
		.amdhsa_system_sgpr_private_segment_wavefront_offset 0
		.amdhsa_system_sgpr_workgroup_id_x 1
		.amdhsa_system_sgpr_workgroup_id_y 1
		.amdhsa_system_sgpr_workgroup_id_z 0
		.amdhsa_system_sgpr_workgroup_info 0
		.amdhsa_system_vgpr_workitem_id 1
		.amdhsa_next_free_vgpr 50
		.amdhsa_next_free_sgpr 46
		.amdhsa_accum_offset 52
		.amdhsa_reserve_vcc 1
		.amdhsa_reserve_flat_scratch 0
		.amdhsa_float_round_mode_32 0
		.amdhsa_float_round_mode_16_64 0
		.amdhsa_float_denorm_mode_32 3
		.amdhsa_float_denorm_mode_16_64 3
		.amdhsa_dx10_clamp 1
		.amdhsa_ieee_mode 1
		.amdhsa_fp16_overflow 0
		.amdhsa_tg_split 0
		.amdhsa_exception_fp_ieee_invalid_op 0
		.amdhsa_exception_fp_denorm_src 0
		.amdhsa_exception_fp_ieee_div_zero 0
		.amdhsa_exception_fp_ieee_overflow 0
		.amdhsa_exception_fp_ieee_underflow 0
		.amdhsa_exception_fp_ieee_inexact 0
		.amdhsa_exception_int_div_zero 0
	.end_amdhsa_kernel
	.section	.text._ZN9rocsparseL31gebsrmm_general_blockdim_kernelILi32ELi32EdEEv20rocsparse_direction_20rocsparse_operation_iiNS_24const_host_device_scalarIT1_EEPKiS7_PKS4_iiS9_lS5_PS4_l21rocsparse_index_base_b,"axG",@progbits,_ZN9rocsparseL31gebsrmm_general_blockdim_kernelILi32ELi32EdEEv20rocsparse_direction_20rocsparse_operation_iiNS_24const_host_device_scalarIT1_EEPKiS7_PKS4_iiS9_lS5_PS4_l21rocsparse_index_base_b,comdat
.Lfunc_end1:
	.size	_ZN9rocsparseL31gebsrmm_general_blockdim_kernelILi32ELi32EdEEv20rocsparse_direction_20rocsparse_operation_iiNS_24const_host_device_scalarIT1_EEPKiS7_PKS4_iiS9_lS5_PS4_l21rocsparse_index_base_b, .Lfunc_end1-_ZN9rocsparseL31gebsrmm_general_blockdim_kernelILi32ELi32EdEEv20rocsparse_direction_20rocsparse_operation_iiNS_24const_host_device_scalarIT1_EEPKiS7_PKS4_iiS9_lS5_PS4_l21rocsparse_index_base_b
                                        ; -- End function
	.section	.AMDGPU.csdata,"",@progbits
; Kernel info:
; codeLenInByte = 1860
; NumSgprs: 50
; NumVgprs: 50
; NumAgprs: 0
; TotalNumVgprs: 50
; ScratchSize: 0
; MemoryBound: 0
; FloatMode: 240
; IeeeMode: 1
; LDSByteSize: 16384 bytes/workgroup (compile time only)
; SGPRBlocks: 6
; VGPRBlocks: 6
; NumSGPRsForWavesPerEU: 50
; NumVGPRsForWavesPerEU: 50
; AccumOffset: 52
; Occupancy: 8
; WaveLimiterHint : 1
; COMPUTE_PGM_RSRC2:SCRATCH_EN: 0
; COMPUTE_PGM_RSRC2:USER_SGPR: 6
; COMPUTE_PGM_RSRC2:TRAP_HANDLER: 0
; COMPUTE_PGM_RSRC2:TGID_X_EN: 1
; COMPUTE_PGM_RSRC2:TGID_Y_EN: 1
; COMPUTE_PGM_RSRC2:TGID_Z_EN: 0
; COMPUTE_PGM_RSRC2:TIDIG_COMP_CNT: 1
; COMPUTE_PGM_RSRC3_GFX90A:ACCUM_OFFSET: 12
; COMPUTE_PGM_RSRC3_GFX90A:TG_SPLIT: 0
	.section	.text._ZN9rocsparseL31gebsrmm_general_blockdim_kernelILi32ELi32E21rocsparse_complex_numIfEEEv20rocsparse_direction_20rocsparse_operation_iiNS_24const_host_device_scalarIT1_EEPKiS9_PKS6_iiSB_lS7_PS6_l21rocsparse_index_base_b,"axG",@progbits,_ZN9rocsparseL31gebsrmm_general_blockdim_kernelILi32ELi32E21rocsparse_complex_numIfEEEv20rocsparse_direction_20rocsparse_operation_iiNS_24const_host_device_scalarIT1_EEPKiS9_PKS6_iiSB_lS7_PS6_l21rocsparse_index_base_b,comdat
	.globl	_ZN9rocsparseL31gebsrmm_general_blockdim_kernelILi32ELi32E21rocsparse_complex_numIfEEEv20rocsparse_direction_20rocsparse_operation_iiNS_24const_host_device_scalarIT1_EEPKiS9_PKS6_iiSB_lS7_PS6_l21rocsparse_index_base_b ; -- Begin function _ZN9rocsparseL31gebsrmm_general_blockdim_kernelILi32ELi32E21rocsparse_complex_numIfEEEv20rocsparse_direction_20rocsparse_operation_iiNS_24const_host_device_scalarIT1_EEPKiS9_PKS6_iiSB_lS7_PS6_l21rocsparse_index_base_b
	.p2align	8
	.type	_ZN9rocsparseL31gebsrmm_general_blockdim_kernelILi32ELi32E21rocsparse_complex_numIfEEEv20rocsparse_direction_20rocsparse_operation_iiNS_24const_host_device_scalarIT1_EEPKiS9_PKS6_iiSB_lS7_PS6_l21rocsparse_index_base_b,@function
_ZN9rocsparseL31gebsrmm_general_blockdim_kernelILi32ELi32E21rocsparse_complex_numIfEEEv20rocsparse_direction_20rocsparse_operation_iiNS_24const_host_device_scalarIT1_EEPKiS9_PKS6_iiSB_lS7_PS6_l21rocsparse_index_base_b: ; @_ZN9rocsparseL31gebsrmm_general_blockdim_kernelILi32ELi32E21rocsparse_complex_numIfEEEv20rocsparse_direction_20rocsparse_operation_iiNS_24const_host_device_scalarIT1_EEPKiS9_PKS6_iiSB_lS7_PS6_l21rocsparse_index_base_b
; %bb.0:
	s_load_dwordx2 s[24:25], s[4:5], 0x60
	s_load_dwordx2 s[2:3], s[4:5], 0x10
	s_waitcnt lgkmcnt(0)
	s_bitcmp1_b32 s25, 0
	s_cselect_b64 s[0:1], -1, 0
	s_xor_b64 s[12:13], s[0:1], -1
	s_and_b64 vcc, exec, s[0:1]
	v_mov_b32_e32 v2, s2
	s_cbranch_vccnz .LBB2_2
; %bb.1:
	v_pk_mov_b32 v[2:3], s[2:3], s[2:3] op_sel:[0,1]
	flat_load_dword v2, v[2:3]
.LBB2_2:
	s_load_dwordx4 s[8:11], s[4:5], 0x40
	v_cndmask_b32_e64 v1, 0, 1, s[12:13]
	v_cmp_ne_u32_e64 s[0:1], 1, v1
	s_andn2_b64 vcc, exec, s[12:13]
	v_mov_b32_e32 v3, s3
	s_cbranch_vccz .LBB2_54
; %bb.3:
	s_and_b64 vcc, exec, s[0:1]
	s_waitcnt lgkmcnt(0)
	v_mov_b32_e32 v4, s10
	s_cbranch_vccz .LBB2_55
.LBB2_4:
	s_and_b64 vcc, exec, s[0:1]
	v_mov_b32_e32 v5, s11
	s_cbranch_vccnz .LBB2_6
.LBB2_5:
	v_pk_mov_b32 v[6:7], s[10:11], s[10:11] op_sel:[0,1]
	flat_load_dword v5, v[6:7] offset:4
.LBB2_6:
	s_waitcnt vmcnt(0)
	v_and_b32_e32 v1, 0x7fffffff, v2
	v_cmp_eq_u32_e32 vcc, 0, v1
	v_cmp_eq_f32_e64 s[0:1], 0, v3
	s_and_b64 s[10:11], vcc, s[0:1]
	s_mov_b64 s[0:1], -1
	s_and_saveexec_b64 s[2:3], s[10:11]
	s_cbranch_execz .LBB2_8
; %bb.7:
	s_waitcnt lgkmcnt(0)
	v_and_b32_e32 v1, 0x7fffffff, v5
	v_cmp_neq_f32_e32 vcc, 1.0, v4
	v_cmp_ne_u32_e64 s[0:1], 0, v1
	s_or_b64 s[0:1], vcc, s[0:1]
	s_orn2_b64 s[0:1], s[0:1], exec
.LBB2_8:
	s_or_b64 exec, exec, s[2:3]
	s_and_saveexec_b64 s[2:3], s[0:1]
	s_cbranch_execz .LBB2_53
; %bb.9:
	s_load_dwordx4 s[16:19], s[4:5], 0x0
	s_mov_b32 s25, 0
	s_mov_b32 s33, 0
	s_waitcnt lgkmcnt(0)
	s_cmp_lt_i32 s6, s18
	s_cselect_b64 s[2:3], -1, 0
	s_cmp_ge_i32 s6, s18
	s_cbranch_scc1 .LBB2_11
; %bb.10:
	s_load_dwordx2 s[10:11], s[4:5], 0x18
	s_mov_b32 s0, s7
	s_ashr_i32 s7, s6, 31
	s_lshl_b64 s[12:13], s[6:7], 2
	s_mov_b32 s7, s0
	s_waitcnt lgkmcnt(0)
	s_add_u32 s0, s10, s12
	s_addc_u32 s1, s11, s13
	s_load_dwordx2 s[0:1], s[0:1], 0x0
	s_waitcnt lgkmcnt(0)
	s_sub_i32 s25, s0, s24
	s_sub_i32 s33, s1, s24
.LBB2_11:
	s_load_dwordx2 s[10:11], s[4:5], 0x30
	s_waitcnt lgkmcnt(0)
	s_cmp_lt_i32 s10, 1
	s_cbranch_scc1 .LBB2_53
; %bb.12:
	s_load_dwordx4 s[20:23], s[4:5], 0x50
	s_load_dwordx4 s[12:15], s[4:5], 0x20
	s_load_dwordx2 s[26:27], s[4:5], 0x38
	v_and_b32_e32 v1, 0x3ff, v0
	v_bfe_u32 v0, v0, 10, 10
	v_lshl_add_u32 v6, s7, 5, v0
	v_ashrrev_i32_e32 v7, 31, v6
	s_waitcnt lgkmcnt(0)
	v_mul_lo_u32 v10, v7, s22
	v_mul_lo_u32 v11, v6, s23
	v_mad_u64_u32 v[8:9], s[0:1], v6, s22, 0
	v_add3_u32 v9, v9, v11, v10
	v_mul_lo_u32 v12, v7, s8
	v_mul_lo_u32 v13, v6, s9
	v_mad_u64_u32 v[10:11], s[0:1], v6, s8, 0
	v_add3_u32 v11, v11, v13, v12
	v_lshlrev_b64 v[12:13], 3, v[6:7]
	s_cmp_lt_i32 s25, s33
	v_mov_b32_e32 v14, s27
	v_add_co_u32_e32 v20, vcc, s26, v12
	v_cmp_gt_i32_e64 s[0:1], s19, v6
	v_lshlrev_b32_e32 v6, 5, v0
	s_cselect_b64 s[4:5], -1, 0
	v_addc_co_u32_e32 v21, vcc, v14, v13, vcc
	s_cmp_gt_i32 s11, 0
	v_add_lshl_u32 v22, v6, v1, 3
	v_lshlrev_b64 v[6:7], 3, v[10:11]
	s_mul_i32 s40, s6, s10
	s_cselect_b64 s[6:7], -1, 0
	s_cmpk_lg_i32 s17, 0x6f
	v_add_co_u32_e32 v24, vcc, s26, v6
	s_cselect_b64 s[22:23], -1, 0
	v_addc_co_u32_e32 v25, vcc, v14, v7, vcc
	s_cmp_lg_u32 s16, 0
	v_and_b32_e32 v6, 0x7fffffff, v4
	s_cselect_b64 s[16:17], -1, 0
	s_and_b64 s[26:27], s[2:3], s[0:1]
	v_cmp_ne_u32_e32 vcc, 0, v6
	v_cmp_neq_f32_e64 s[2:3], 0, v5
	s_or_b64 s[28:29], vcc, s[2:3]
	v_mov_b32_e32 v10, 0x2000
	s_mul_i32 s2, s25, s10
	v_lshl_add_u32 v29, v0, 8, v10
	v_add_u32_e32 v10, s2, v1
	v_mad_u64_u32 v[10:11], s[2:3], s11, v10, v[0:1]
	v_lshlrev_b64 v[6:7], 3, v[8:9]
	v_cndmask_b32_e64 v11, 0, 1, s[4:5]
	v_mov_b32_e32 v8, s21
	v_add_co_u32_e32 v26, vcc, s20, v6
	v_cmp_ne_u32_e64 s[2:3], 1, v11
	v_cndmask_b32_e64 v11, 0, 1, s[6:7]
	s_mov_b32 s18, 0
	v_add_u32_e32 v23, 0x2000, v22
	v_addc_co_u32_e32 v27, vcc, v8, v7, vcc
	v_xor_b32_e32 v6, 0x80000000, v3
	v_xor_b32_e32 v8, 0x80000000, v5
	v_mov_b32_e32 v7, v2
	v_mov_b32_e32 v9, v4
	v_lshlrev_b32_e32 v28, 3, v1
	s_lshl_b32 s41, s11, 5
	s_mul_i32 s42, s11, s10
	v_cmp_ne_u32_e64 s[4:5], 1, v11
	s_mov_b32 s43, 0
	s_branch .LBB2_14
.LBB2_13:                               ;   in Loop: Header=BB2_14 Depth=1
	s_or_b64 exec, exec, s[6:7]
	s_add_i32 s43, s43, 32
	s_cmp_lt_i32 s43, s10
	v_add_u32_e32 v10, s41, v10
	s_cbranch_scc0 .LBB2_53
.LBB2_14:                               ; =>This Loop Header: Depth=1
                                        ;     Child Loop BB2_17 Depth 2
                                        ;       Child Loop BB2_20 Depth 3
	v_add_u32_e32 v12, s43, v1
	s_mov_b32 s19, s18
	s_and_b64 vcc, exec, s[2:3]
	v_pk_mov_b32 v[14:15], s[18:19], s[18:19] op_sel:[0,1]
	v_cmp_gt_i32_e64 s[6:7], s10, v12
	s_cbranch_vccnz .LBB2_48
; %bb.15:                               ;   in Loop: Header=BB2_14 Depth=1
	v_pk_mov_b32 v[14:15], s[18:19], s[18:19] op_sel:[0,1]
	v_mov_b32_e32 v11, v10
	s_mov_b32 s20, s25
	s_branch .LBB2_17
.LBB2_16:                               ;   in Loop: Header=BB2_17 Depth=2
	s_add_i32 s20, s20, 1
	s_cmp_ge_i32 s20, s33
	v_add_u32_e32 v11, s42, v11
	s_cbranch_scc1 .LBB2_48
.LBB2_17:                               ;   Parent Loop BB2_14 Depth=1
                                        ; =>  This Loop Header: Depth=2
                                        ;       Child Loop BB2_20 Depth 3
	s_and_b64 vcc, exec, s[4:5]
	s_cbranch_vccnz .LBB2_16
; %bb.18:                               ;   in Loop: Header=BB2_17 Depth=2
	s_ashr_i32 s21, s20, 31
	s_lshl_b64 s[30:31], s[20:21], 2
	s_add_u32 s30, s12, s30
	s_addc_u32 s31, s13, s31
	s_load_dword s21, s[30:31], 0x0
	s_mul_i32 s19, s20, s11
	s_waitcnt lgkmcnt(0)
	s_sub_i32 s21, s21, s24
	s_mul_i32 s21, s21, s11
	v_add_u32_e32 v13, s21, v1
	s_mov_b32 s21, 0
	s_branch .LBB2_20
.LBB2_19:                               ;   in Loop: Header=BB2_20 Depth=3
	s_or_b64 exec, exec, s[34:35]
	s_waitcnt vmcnt(0)
	ds_write_b64 v22, v[18:19]
	s_waitcnt lgkmcnt(0)
	s_barrier
	ds_read2_b64 v[16:19], v28 offset1:32
	ds_read_b128 v[30:33], v29
	ds_read_b128 v[34:37], v29 offset:16
	ds_read_b128 v[38:41], v29 offset:32
	;; [unrolled: 1-line block ×3, first 2 shown]
	ds_read2_b64 v[46:49], v28 offset0:64 offset1:96
	s_waitcnt lgkmcnt(4)
	v_pk_fma_f32 v[14:15], v[16:17], v[30:31], v[14:15] op_sel_hi:[1,0,1]
	v_pk_fma_f32 v[14:15], v[16:17], v[30:31], v[14:15] op_sel:[1,1,0] op_sel_hi:[0,1,1] neg_lo:[1,0,0]
	v_pk_fma_f32 v[14:15], v[18:19], v[32:33], v[14:15] op_sel_hi:[1,0,1]
	v_mov_b32_e32 v16, v33
	v_pk_fma_f32 v[14:15], v[18:19], v[16:17], v[14:15] op_sel:[1,0,0] op_sel_hi:[0,0,1] neg_lo:[1,0,0]
	s_waitcnt lgkmcnt(0)
	v_pk_fma_f32 v[18:19], v[46:47], v[34:35], v[14:15] op_sel_hi:[1,0,1]
	ds_read2_b64 v[14:17], v28 offset0:128 offset1:160
	v_pk_fma_f32 v[18:19], v[46:47], v[34:35], v[18:19] op_sel:[1,1,0] op_sel_hi:[0,1,1] neg_lo:[1,0,0]
	v_pk_fma_f32 v[18:19], v[48:49], v[36:37], v[18:19] op_sel_hi:[1,0,1]
	v_mov_b32_e32 v30, v37
	v_pk_fma_f32 v[18:19], v[48:49], v[30:31], v[18:19] op_sel:[1,0,0] op_sel_hi:[0,0,1] neg_lo:[1,0,0]
	ds_read2_b64 v[30:33], v28 offset0:192 offset1:224
	s_waitcnt lgkmcnt(1)
	v_pk_fma_f32 v[18:19], v[14:15], v[38:39], v[18:19] op_sel_hi:[1,0,1]
	v_pk_fma_f32 v[14:15], v[14:15], v[38:39], v[18:19] op_sel:[1,1,0] op_sel_hi:[0,1,1] neg_lo:[1,0,0]
	v_pk_fma_f32 v[14:15], v[16:17], v[40:41], v[14:15] op_sel_hi:[1,0,1]
	v_mov_b32_e32 v18, v41
	v_pk_fma_f32 v[14:15], v[16:17], v[18:19], v[14:15] op_sel:[1,0,0] op_sel_hi:[0,0,1] neg_lo:[1,0,0]
	s_waitcnt lgkmcnt(0)
	v_pk_fma_f32 v[14:15], v[30:31], v[42:43], v[14:15] op_sel_hi:[1,0,1]
	v_pk_fma_f32 v[18:19], v[30:31], v[42:43], v[14:15] op_sel:[1,1,0] op_sel_hi:[0,1,1] neg_lo:[1,0,0]
	v_add_u32_e32 v42, 0x800, v28
	ds_read2_b64 v[14:17], v42 offset1:32
	ds_read_b128 v[34:37], v29 offset:64
	v_pk_fma_f32 v[18:19], v[32:33], v[44:45], v[18:19] op_sel_hi:[1,0,1]
	v_mov_b32_e32 v30, v45
	v_pk_fma_f32 v[18:19], v[32:33], v[30:31], v[18:19] op_sel:[1,0,0] op_sel_hi:[0,0,1] neg_lo:[1,0,0]
	ds_read_b128 v[30:33], v29 offset:80
	ds_read2_b64 v[38:41], v42 offset0:64 offset1:96
	s_waitcnt lgkmcnt(2)
	v_pk_fma_f32 v[18:19], v[14:15], v[34:35], v[18:19] op_sel_hi:[1,0,1]
	v_pk_fma_f32 v[14:15], v[14:15], v[34:35], v[18:19] op_sel:[1,1,0] op_sel_hi:[0,1,1] neg_lo:[1,0,0]
	v_pk_fma_f32 v[14:15], v[16:17], v[36:37], v[14:15] op_sel_hi:[1,0,1]
	v_mov_b32_e32 v18, v37
	v_pk_fma_f32 v[14:15], v[16:17], v[18:19], v[14:15] op_sel:[1,0,0] op_sel_hi:[0,0,1] neg_lo:[1,0,0]
	s_waitcnt lgkmcnt(0)
	v_pk_fma_f32 v[14:15], v[38:39], v[30:31], v[14:15] op_sel_hi:[1,0,1]
	v_pk_fma_f32 v[18:19], v[38:39], v[30:31], v[14:15] op_sel:[1,1,0] op_sel_hi:[0,1,1] neg_lo:[1,0,0]
	ds_read2_b64 v[14:17], v42 offset0:128 offset1:160
	ds_read_b128 v[34:37], v29 offset:96
	v_pk_fma_f32 v[18:19], v[40:41], v[32:33], v[18:19] op_sel_hi:[1,0,1]
	v_mov_b32_e32 v30, v33
	v_pk_fma_f32 v[18:19], v[40:41], v[30:31], v[18:19] op_sel:[1,0,0] op_sel_hi:[0,0,1] neg_lo:[1,0,0]
	ds_read_b128 v[30:33], v29 offset:112
	ds_read2_b64 v[38:41], v42 offset0:192 offset1:224
	s_waitcnt lgkmcnt(2)
	v_pk_fma_f32 v[18:19], v[14:15], v[34:35], v[18:19] op_sel_hi:[1,0,1]
	v_pk_fma_f32 v[14:15], v[14:15], v[34:35], v[18:19] op_sel:[1,1,0] op_sel_hi:[0,1,1] neg_lo:[1,0,0]
	v_pk_fma_f32 v[14:15], v[16:17], v[36:37], v[14:15] op_sel_hi:[1,0,1]
	v_mov_b32_e32 v18, v37
	v_pk_fma_f32 v[14:15], v[16:17], v[18:19], v[14:15] op_sel:[1,0,0] op_sel_hi:[0,0,1] neg_lo:[1,0,0]
	s_waitcnt lgkmcnt(0)
	v_pk_fma_f32 v[14:15], v[38:39], v[30:31], v[14:15] op_sel_hi:[1,0,1]
	v_add_u32_e32 v42, 0x1000, v28
	v_pk_fma_f32 v[18:19], v[38:39], v[30:31], v[14:15] op_sel:[1,1,0] op_sel_hi:[0,1,1] neg_lo:[1,0,0]
	ds_read2_b64 v[14:17], v42 offset1:32
	ds_read_b128 v[34:37], v29 offset:128
	v_pk_fma_f32 v[18:19], v[40:41], v[32:33], v[18:19] op_sel_hi:[1,0,1]
	v_mov_b32_e32 v30, v33
	v_pk_fma_f32 v[18:19], v[40:41], v[30:31], v[18:19] op_sel:[1,0,0] op_sel_hi:[0,0,1] neg_lo:[1,0,0]
	ds_read_b128 v[30:33], v29 offset:144
	ds_read2_b64 v[38:41], v42 offset0:64 offset1:96
	s_waitcnt lgkmcnt(2)
	v_pk_fma_f32 v[18:19], v[14:15], v[34:35], v[18:19] op_sel_hi:[1,0,1]
	v_pk_fma_f32 v[14:15], v[14:15], v[34:35], v[18:19] op_sel:[1,1,0] op_sel_hi:[0,1,1] neg_lo:[1,0,0]
	v_pk_fma_f32 v[14:15], v[16:17], v[36:37], v[14:15] op_sel_hi:[1,0,1]
	v_mov_b32_e32 v18, v37
	v_pk_fma_f32 v[14:15], v[16:17], v[18:19], v[14:15] op_sel:[1,0,0] op_sel_hi:[0,0,1] neg_lo:[1,0,0]
	s_waitcnt lgkmcnt(0)
	v_pk_fma_f32 v[14:15], v[38:39], v[30:31], v[14:15] op_sel_hi:[1,0,1]
	v_pk_fma_f32 v[18:19], v[38:39], v[30:31], v[14:15] op_sel:[1,1,0] op_sel_hi:[0,1,1] neg_lo:[1,0,0]
	ds_read2_b64 v[14:17], v42 offset0:128 offset1:160
	ds_read_b128 v[34:37], v29 offset:160
	v_pk_fma_f32 v[18:19], v[40:41], v[32:33], v[18:19] op_sel_hi:[1,0,1]
	v_mov_b32_e32 v30, v33
	v_pk_fma_f32 v[18:19], v[40:41], v[30:31], v[18:19] op_sel:[1,0,0] op_sel_hi:[0,0,1] neg_lo:[1,0,0]
	ds_read_b128 v[30:33], v29 offset:176
	ds_read2_b64 v[38:41], v42 offset0:192 offset1:224
	s_waitcnt lgkmcnt(2)
	v_pk_fma_f32 v[18:19], v[14:15], v[34:35], v[18:19] op_sel_hi:[1,0,1]
	v_pk_fma_f32 v[14:15], v[14:15], v[34:35], v[18:19] op_sel:[1,1,0] op_sel_hi:[0,1,1] neg_lo:[1,0,0]
	v_pk_fma_f32 v[14:15], v[16:17], v[36:37], v[14:15] op_sel_hi:[1,0,1]
	v_mov_b32_e32 v18, v37
	v_pk_fma_f32 v[14:15], v[16:17], v[18:19], v[14:15] op_sel:[1,0,0] op_sel_hi:[0,0,1] neg_lo:[1,0,0]
	s_waitcnt lgkmcnt(0)
	v_pk_fma_f32 v[14:15], v[38:39], v[30:31], v[14:15] op_sel_hi:[1,0,1]
	v_add_u32_e32 v42, 0x1800, v28
	v_pk_fma_f32 v[18:19], v[38:39], v[30:31], v[14:15] op_sel:[1,1,0] op_sel_hi:[0,1,1] neg_lo:[1,0,0]
	ds_read2_b64 v[14:17], v42 offset1:32
	ds_read_b128 v[34:37], v29 offset:192
	v_pk_fma_f32 v[18:19], v[40:41], v[32:33], v[18:19] op_sel_hi:[1,0,1]
	v_mov_b32_e32 v30, v33
	v_pk_fma_f32 v[18:19], v[40:41], v[30:31], v[18:19] op_sel:[1,0,0] op_sel_hi:[0,0,1] neg_lo:[1,0,0]
	ds_read_b128 v[30:33], v29 offset:208
	ds_read2_b64 v[38:41], v42 offset0:64 offset1:96
	s_waitcnt lgkmcnt(2)
	v_pk_fma_f32 v[18:19], v[14:15], v[34:35], v[18:19] op_sel_hi:[1,0,1]
	v_pk_fma_f32 v[14:15], v[14:15], v[34:35], v[18:19] op_sel:[1,1,0] op_sel_hi:[0,1,1] neg_lo:[1,0,0]
	v_pk_fma_f32 v[14:15], v[16:17], v[36:37], v[14:15] op_sel_hi:[1,0,1]
	v_mov_b32_e32 v18, v37
	v_pk_fma_f32 v[14:15], v[16:17], v[18:19], v[14:15] op_sel:[1,0,0] op_sel_hi:[0,0,1] neg_lo:[1,0,0]
	s_waitcnt lgkmcnt(0)
	v_pk_fma_f32 v[14:15], v[38:39], v[30:31], v[14:15] op_sel_hi:[1,0,1]
	v_pk_fma_f32 v[18:19], v[38:39], v[30:31], v[14:15] op_sel:[1,1,0] op_sel_hi:[0,1,1] neg_lo:[1,0,0]
	ds_read2_b64 v[14:17], v42 offset0:128 offset1:160
	ds_read_b128 v[34:37], v29 offset:224
	v_pk_fma_f32 v[18:19], v[40:41], v[32:33], v[18:19] op_sel_hi:[1,0,1]
	v_mov_b32_e32 v30, v33
	v_pk_fma_f32 v[18:19], v[40:41], v[30:31], v[18:19] op_sel:[1,0,0] op_sel_hi:[0,0,1] neg_lo:[1,0,0]
	ds_read_b128 v[30:33], v29 offset:240
	ds_read2_b64 v[38:41], v42 offset0:192 offset1:224
	s_waitcnt lgkmcnt(2)
	v_pk_fma_f32 v[18:19], v[14:15], v[34:35], v[18:19] op_sel_hi:[1,0,1]
	v_pk_fma_f32 v[14:15], v[14:15], v[34:35], v[18:19] op_sel:[1,1,0] op_sel_hi:[0,1,1] neg_lo:[1,0,0]
	v_pk_fma_f32 v[14:15], v[16:17], v[36:37], v[14:15] op_sel_hi:[1,0,1]
	v_mov_b32_e32 v18, v37
	v_pk_fma_f32 v[14:15], v[16:17], v[18:19], v[14:15] op_sel:[1,0,0] op_sel_hi:[0,0,1] neg_lo:[1,0,0]
	s_waitcnt lgkmcnt(0)
	v_pk_fma_f32 v[14:15], v[38:39], v[30:31], v[14:15] op_sel_hi:[1,0,1]
	v_pk_fma_f32 v[14:15], v[38:39], v[30:31], v[14:15] op_sel:[1,1,0] op_sel_hi:[0,1,1] neg_lo:[1,0,0]
	v_pk_fma_f32 v[14:15], v[40:41], v[32:33], v[14:15] op_sel_hi:[1,0,1]
	v_mov_b32_e32 v16, v33
	s_add_i32 s21, s21, 32
	v_pk_fma_f32 v[14:15], v[40:41], v[16:17], v[14:15] op_sel:[1,0,0] op_sel_hi:[0,0,1] neg_lo:[1,0,0]
	s_cmp_ge_i32 s21, s11
	s_barrier
	s_cbranch_scc1 .LBB2_16
.LBB2_20:                               ;   Parent Loop BB2_14 Depth=1
                                        ;     Parent Loop BB2_17 Depth=2
                                        ; =>    This Inner Loop Header: Depth=3
	s_and_b64 vcc, exec, s[22:23]
	s_cbranch_vccz .LBB2_26
; %bb.21:                               ;   in Loop: Header=BB2_20 Depth=3
	s_mov_b64 s[34:35], 0
	s_mov_b64 s[30:31], 0
                                        ; implicit-def: $vgpr16_vgpr17
	s_and_saveexec_b64 s[36:37], s[0:1]
	s_cbranch_execz .LBB2_25
; %bb.22:                               ;   in Loop: Header=BB2_20 Depth=3
	v_add_u32_e32 v16, s21, v1
	v_cmp_gt_i32_e32 vcc, s11, v16
                                        ; implicit-def: $vgpr16_vgpr17
	s_and_saveexec_b64 s[38:39], vcc
	s_xor_b64 s[38:39], exec, s[38:39]
; %bb.23:                               ;   in Loop: Header=BB2_20 Depth=3
	v_add_u32_e32 v16, s21, v13
	v_ashrrev_i32_e32 v17, 31, v16
	v_mul_lo_u32 v18, v17, s8
	v_mul_lo_u32 v19, v16, s9
	v_mad_u64_u32 v[16:17], s[44:45], v16, s8, 0
	v_add3_u32 v17, v17, v19, v18
	v_lshlrev_b64 v[16:17], 3, v[16:17]
	v_add_co_u32_e32 v16, vcc, v20, v16
	s_mov_b64 s[30:31], exec
	v_addc_co_u32_e32 v17, vcc, v21, v17, vcc
; %bb.24:                               ;   in Loop: Header=BB2_20 Depth=3
	s_or_b64 exec, exec, s[38:39]
	s_and_b64 s[30:31], s[30:31], exec
.LBB2_25:                               ;   in Loop: Header=BB2_20 Depth=3
	s_or_b64 exec, exec, s[36:37]
	s_mov_b32 s36, 0
	s_and_b64 vcc, exec, s[34:35]
	s_cbranch_vccnz .LBB2_27
	s_branch .LBB2_32
.LBB2_26:                               ;   in Loop: Header=BB2_20 Depth=3
	s_mov_b64 s[30:31], 0
                                        ; implicit-def: $vgpr16_vgpr17
                                        ; implicit-def: $sgpr36
	s_cbranch_execz .LBB2_32
.LBB2_27:                               ;   in Loop: Header=BB2_20 Depth=3
                                        ; implicit-def: $vgpr16_vgpr17
	s_and_saveexec_b64 s[34:35], s[0:1]
	s_cbranch_execz .LBB2_31
; %bb.28:                               ;   in Loop: Header=BB2_20 Depth=3
	v_add_u32_e32 v16, s21, v1
	v_cmp_gt_i32_e32 vcc, s11, v16
	s_mov_b64 s[38:39], s[30:31]
                                        ; implicit-def: $vgpr16_vgpr17
	s_and_saveexec_b64 s[36:37], vcc
; %bb.29:                               ;   in Loop: Header=BB2_20 Depth=3
	v_add_u32_e32 v16, s21, v13
	v_ashrrev_i32_e32 v17, 31, v16
	v_lshlrev_b64 v[16:17], 3, v[16:17]
	v_add_co_u32_e32 v16, vcc, v24, v16
	v_addc_co_u32_e32 v17, vcc, v25, v17, vcc
	s_or_b64 s[38:39], s[30:31], exec
; %bb.30:                               ;   in Loop: Header=BB2_20 Depth=3
	s_or_b64 exec, exec, s[36:37]
	s_andn2_b64 s[30:31], s[30:31], exec
	s_and_b64 s[36:37], s[38:39], exec
	s_or_b64 s[30:31], s[30:31], s[36:37]
.LBB2_31:                               ;   in Loop: Header=BB2_20 Depth=3
	s_or_b64 exec, exec, s[34:35]
	s_mov_b32 s36, 0
.LBB2_32:                               ;   in Loop: Header=BB2_20 Depth=3
	v_mov_b32_e32 v18, s36
	v_mov_b32_e32 v19, s36
	s_and_saveexec_b64 s[34:35], s[30:31]
	s_cbranch_execnz .LBB2_40
; %bb.33:                               ;   in Loop: Header=BB2_20 Depth=3
	s_or_b64 exec, exec, s[34:35]
	s_and_b64 vcc, exec, s[16:17]
	ds_write_b64 v23, v[18:19]
	s_cbranch_vccz .LBB2_41
.LBB2_34:                               ;   in Loop: Header=BB2_20 Depth=3
	s_mov_b64 s[34:35], 0
	s_mov_b64 s[30:31], 0
                                        ; implicit-def: $vgpr16
	s_and_saveexec_b64 s[36:37], s[6:7]
	s_cbranch_execz .LBB2_38
; %bb.35:                               ;   in Loop: Header=BB2_20 Depth=3
	v_add_u32_e32 v17, s21, v0
	v_cmp_gt_i32_e32 vcc, s11, v17
                                        ; implicit-def: $vgpr16
	s_and_saveexec_b64 s[38:39], vcc
	s_xor_b64 s[38:39], exec, s[38:39]
; %bb.36:                               ;   in Loop: Header=BB2_20 Depth=3
	v_add_u32_e32 v16, s19, v17
	s_mov_b64 s[30:31], exec
	v_mad_u64_u32 v[16:17], s[44:45], v16, s10, v[12:13]
; %bb.37:                               ;   in Loop: Header=BB2_20 Depth=3
	s_or_b64 exec, exec, s[38:39]
	s_and_b64 s[30:31], s[30:31], exec
.LBB2_38:                               ;   in Loop: Header=BB2_20 Depth=3
	s_or_b64 exec, exec, s[36:37]
	s_mov_b32 s36, 0
	s_and_b64 vcc, exec, s[34:35]
	s_cbranch_vccnz .LBB2_42
.LBB2_39:                               ;   in Loop: Header=BB2_20 Depth=3
	v_mov_b32_e32 v18, s36
	v_mov_b32_e32 v19, s36
	s_and_saveexec_b64 s[34:35], s[30:31]
	s_cbranch_execz .LBB2_19
	s_branch .LBB2_47
.LBB2_40:                               ;   in Loop: Header=BB2_20 Depth=3
	global_load_dwordx2 v[18:19], v[16:17], off
	s_or_b64 exec, exec, s[34:35]
	s_and_b64 vcc, exec, s[16:17]
	s_waitcnt vmcnt(0)
	ds_write_b64 v23, v[18:19]
	s_cbranch_vccnz .LBB2_34
.LBB2_41:                               ;   in Loop: Header=BB2_20 Depth=3
	s_mov_b64 s[30:31], 0
                                        ; implicit-def: $vgpr16
                                        ; implicit-def: $sgpr36
	s_cbranch_execz .LBB2_39
.LBB2_42:                               ;   in Loop: Header=BB2_20 Depth=3
                                        ; implicit-def: $vgpr16
	s_and_saveexec_b64 s[34:35], s[6:7]
	s_cbranch_execz .LBB2_46
; %bb.43:                               ;   in Loop: Header=BB2_20 Depth=3
	v_add_u32_e32 v16, s21, v0
	v_cmp_gt_i32_e32 vcc, s11, v16
	s_mov_b64 s[36:37], s[30:31]
                                        ; implicit-def: $vgpr16
	s_and_saveexec_b64 s[38:39], vcc
; %bb.44:                               ;   in Loop: Header=BB2_20 Depth=3
	v_add_u32_e32 v16, s21, v11
	s_or_b64 s[36:37], s[30:31], exec
; %bb.45:                               ;   in Loop: Header=BB2_20 Depth=3
	s_or_b64 exec, exec, s[38:39]
	s_andn2_b64 s[30:31], s[30:31], exec
	s_and_b64 s[36:37], s[36:37], exec
	s_or_b64 s[30:31], s[30:31], s[36:37]
.LBB2_46:                               ;   in Loop: Header=BB2_20 Depth=3
	s_or_b64 exec, exec, s[34:35]
	s_mov_b32 s36, 0
	v_mov_b32_e32 v18, s36
	v_mov_b32_e32 v19, s36
	s_and_saveexec_b64 s[34:35], s[30:31]
	s_cbranch_execz .LBB2_19
.LBB2_47:                               ;   in Loop: Header=BB2_20 Depth=3
	v_ashrrev_i32_e32 v17, 31, v16
	v_lshlrev_b64 v[16:17], 3, v[16:17]
	v_mov_b32_e32 v18, s15
	v_add_co_u32_e32 v16, vcc, s14, v16
	v_addc_co_u32_e32 v17, vcc, v18, v17, vcc
	global_load_dwordx2 v[18:19], v[16:17], off
	s_branch .LBB2_19
.LBB2_48:                               ;   in Loop: Header=BB2_14 Depth=1
	v_cmp_gt_i32_e32 vcc, s10, v12
	s_and_b64 s[20:21], s[26:27], vcc
	s_and_saveexec_b64 s[6:7], s[20:21]
	s_cbranch_execz .LBB2_13
; %bb.49:                               ;   in Loop: Header=BB2_14 Depth=1
	v_add_u32_e32 v12, s40, v12
	s_and_saveexec_b64 s[20:21], s[28:29]
	s_xor_b64 s[20:21], exec, s[20:21]
	s_cbranch_execz .LBB2_51
; %bb.50:                               ;   in Loop: Header=BB2_14 Depth=1
	v_ashrrev_i32_e32 v13, 31, v12
	v_lshlrev_b64 v[12:13], 3, v[12:13]
	v_add_co_u32_e32 v12, vcc, v26, v12
	v_addc_co_u32_e32 v13, vcc, v27, v13, vcc
	global_load_dwordx2 v[16:17], v[12:13], off
	v_pk_mul_f32 v[18:19], v[14:15], v[6:7] op_sel:[1,0]
	v_pk_fma_f32 v[14:15], v[2:3], v[14:15], v[18:19] op_sel_hi:[1,0,1]
	s_waitcnt vmcnt(0)
	v_pk_fma_f32 v[14:15], v[4:5], v[16:17], v[14:15] op_sel_hi:[1,0,1]
	v_pk_fma_f32 v[14:15], v[8:9], v[16:17], v[14:15] op_sel:[0,1,0]
	global_store_dwordx2 v[12:13], v[14:15], off
                                        ; implicit-def: $vgpr14_vgpr15
                                        ; implicit-def: $vgpr12
.LBB2_51:                               ;   in Loop: Header=BB2_14 Depth=1
	s_andn2_saveexec_b64 s[20:21], s[20:21]
	s_cbranch_execz .LBB2_13
; %bb.52:                               ;   in Loop: Header=BB2_14 Depth=1
	v_ashrrev_i32_e32 v13, 31, v12
	v_lshlrev_b64 v[12:13], 3, v[12:13]
	v_pk_mul_f32 v[16:17], v[14:15], v[6:7] op_sel:[1,0]
	v_add_co_u32_e32 v12, vcc, v26, v12
	v_addc_co_u32_e32 v13, vcc, v27, v13, vcc
	v_pk_fma_f32 v[14:15], v[2:3], v[14:15], v[16:17] op_sel_hi:[1,0,1]
	global_store_dwordx2 v[12:13], v[14:15], off
	s_branch .LBB2_13
.LBB2_53:
	s_endpgm
.LBB2_54:
	v_pk_mov_b32 v[4:5], s[2:3], s[2:3] op_sel:[0,1]
	flat_load_dword v3, v[4:5] offset:4
	s_and_b64 vcc, exec, s[0:1]
	s_waitcnt lgkmcnt(0)
	v_mov_b32_e32 v4, s10
	s_cbranch_vccnz .LBB2_4
.LBB2_55:
	v_pk_mov_b32 v[4:5], s[10:11], s[10:11] op_sel:[0,1]
	flat_load_dword v4, v[4:5]
	s_and_b64 vcc, exec, s[0:1]
	v_mov_b32_e32 v5, s11
	s_cbranch_vccz .LBB2_5
	s_branch .LBB2_6
	.section	.rodata,"a",@progbits
	.p2align	6, 0x0
	.amdhsa_kernel _ZN9rocsparseL31gebsrmm_general_blockdim_kernelILi32ELi32E21rocsparse_complex_numIfEEEv20rocsparse_direction_20rocsparse_operation_iiNS_24const_host_device_scalarIT1_EEPKiS9_PKS6_iiSB_lS7_PS6_l21rocsparse_index_base_b
		.amdhsa_group_segment_fixed_size 16384
		.amdhsa_private_segment_fixed_size 0
		.amdhsa_kernarg_size 104
		.amdhsa_user_sgpr_count 6
		.amdhsa_user_sgpr_private_segment_buffer 1
		.amdhsa_user_sgpr_dispatch_ptr 0
		.amdhsa_user_sgpr_queue_ptr 0
		.amdhsa_user_sgpr_kernarg_segment_ptr 1
		.amdhsa_user_sgpr_dispatch_id 0
		.amdhsa_user_sgpr_flat_scratch_init 0
		.amdhsa_user_sgpr_kernarg_preload_length 0
		.amdhsa_user_sgpr_kernarg_preload_offset 0
		.amdhsa_user_sgpr_private_segment_size 0
		.amdhsa_uses_dynamic_stack 0
		.amdhsa_system_sgpr_private_segment_wavefront_offset 0
		.amdhsa_system_sgpr_workgroup_id_x 1
		.amdhsa_system_sgpr_workgroup_id_y 1
		.amdhsa_system_sgpr_workgroup_id_z 0
		.amdhsa_system_sgpr_workgroup_info 0
		.amdhsa_system_vgpr_workitem_id 1
		.amdhsa_next_free_vgpr 50
		.amdhsa_next_free_sgpr 46
		.amdhsa_accum_offset 52
		.amdhsa_reserve_vcc 1
		.amdhsa_reserve_flat_scratch 0
		.amdhsa_float_round_mode_32 0
		.amdhsa_float_round_mode_16_64 0
		.amdhsa_float_denorm_mode_32 3
		.amdhsa_float_denorm_mode_16_64 3
		.amdhsa_dx10_clamp 1
		.amdhsa_ieee_mode 1
		.amdhsa_fp16_overflow 0
		.amdhsa_tg_split 0
		.amdhsa_exception_fp_ieee_invalid_op 0
		.amdhsa_exception_fp_denorm_src 0
		.amdhsa_exception_fp_ieee_div_zero 0
		.amdhsa_exception_fp_ieee_overflow 0
		.amdhsa_exception_fp_ieee_underflow 0
		.amdhsa_exception_fp_ieee_inexact 0
		.amdhsa_exception_int_div_zero 0
	.end_amdhsa_kernel
	.section	.text._ZN9rocsparseL31gebsrmm_general_blockdim_kernelILi32ELi32E21rocsparse_complex_numIfEEEv20rocsparse_direction_20rocsparse_operation_iiNS_24const_host_device_scalarIT1_EEPKiS9_PKS6_iiSB_lS7_PS6_l21rocsparse_index_base_b,"axG",@progbits,_ZN9rocsparseL31gebsrmm_general_blockdim_kernelILi32ELi32E21rocsparse_complex_numIfEEEv20rocsparse_direction_20rocsparse_operation_iiNS_24const_host_device_scalarIT1_EEPKiS9_PKS6_iiSB_lS7_PS6_l21rocsparse_index_base_b,comdat
.Lfunc_end2:
	.size	_ZN9rocsparseL31gebsrmm_general_blockdim_kernelILi32ELi32E21rocsparse_complex_numIfEEEv20rocsparse_direction_20rocsparse_operation_iiNS_24const_host_device_scalarIT1_EEPKiS9_PKS6_iiSB_lS7_PS6_l21rocsparse_index_base_b, .Lfunc_end2-_ZN9rocsparseL31gebsrmm_general_blockdim_kernelILi32ELi32E21rocsparse_complex_numIfEEEv20rocsparse_direction_20rocsparse_operation_iiNS_24const_host_device_scalarIT1_EEPKiS9_PKS6_iiSB_lS7_PS6_l21rocsparse_index_base_b
                                        ; -- End function
	.section	.AMDGPU.csdata,"",@progbits
; Kernel info:
; codeLenInByte = 2540
; NumSgprs: 50
; NumVgprs: 50
; NumAgprs: 0
; TotalNumVgprs: 50
; ScratchSize: 0
; MemoryBound: 0
; FloatMode: 240
; IeeeMode: 1
; LDSByteSize: 16384 bytes/workgroup (compile time only)
; SGPRBlocks: 6
; VGPRBlocks: 6
; NumSGPRsForWavesPerEU: 50
; NumVGPRsForWavesPerEU: 50
; AccumOffset: 52
; Occupancy: 8
; WaveLimiterHint : 1
; COMPUTE_PGM_RSRC2:SCRATCH_EN: 0
; COMPUTE_PGM_RSRC2:USER_SGPR: 6
; COMPUTE_PGM_RSRC2:TRAP_HANDLER: 0
; COMPUTE_PGM_RSRC2:TGID_X_EN: 1
; COMPUTE_PGM_RSRC2:TGID_Y_EN: 1
; COMPUTE_PGM_RSRC2:TGID_Z_EN: 0
; COMPUTE_PGM_RSRC2:TIDIG_COMP_CNT: 1
; COMPUTE_PGM_RSRC3_GFX90A:ACCUM_OFFSET: 12
; COMPUTE_PGM_RSRC3_GFX90A:TG_SPLIT: 0
	.section	.text._ZN9rocsparseL31gebsrmm_general_blockdim_kernelILi32ELi32E21rocsparse_complex_numIdEEEv20rocsparse_direction_20rocsparse_operation_iiNS_24const_host_device_scalarIT1_EEPKiS9_PKS6_iiSB_lS7_PS6_l21rocsparse_index_base_b,"axG",@progbits,_ZN9rocsparseL31gebsrmm_general_blockdim_kernelILi32ELi32E21rocsparse_complex_numIdEEEv20rocsparse_direction_20rocsparse_operation_iiNS_24const_host_device_scalarIT1_EEPKiS9_PKS6_iiSB_lS7_PS6_l21rocsparse_index_base_b,comdat
	.globl	_ZN9rocsparseL31gebsrmm_general_blockdim_kernelILi32ELi32E21rocsparse_complex_numIdEEEv20rocsparse_direction_20rocsparse_operation_iiNS_24const_host_device_scalarIT1_EEPKiS9_PKS6_iiSB_lS7_PS6_l21rocsparse_index_base_b ; -- Begin function _ZN9rocsparseL31gebsrmm_general_blockdim_kernelILi32ELi32E21rocsparse_complex_numIdEEEv20rocsparse_direction_20rocsparse_operation_iiNS_24const_host_device_scalarIT1_EEPKiS9_PKS6_iiSB_lS7_PS6_l21rocsparse_index_base_b
	.p2align	8
	.type	_ZN9rocsparseL31gebsrmm_general_blockdim_kernelILi32ELi32E21rocsparse_complex_numIdEEEv20rocsparse_direction_20rocsparse_operation_iiNS_24const_host_device_scalarIT1_EEPKiS9_PKS6_iiSB_lS7_PS6_l21rocsparse_index_base_b,@function
_ZN9rocsparseL31gebsrmm_general_blockdim_kernelILi32ELi32E21rocsparse_complex_numIdEEEv20rocsparse_direction_20rocsparse_operation_iiNS_24const_host_device_scalarIT1_EEPKiS9_PKS6_iiSB_lS7_PS6_l21rocsparse_index_base_b: ; @_ZN9rocsparseL31gebsrmm_general_blockdim_kernelILi32ELi32E21rocsparse_complex_numIdEEEv20rocsparse_direction_20rocsparse_operation_iiNS_24const_host_device_scalarIT1_EEPKiS9_PKS6_iiSB_lS7_PS6_l21rocsparse_index_base_b
; %bb.0:
	s_add_u32 flat_scratch_lo, s6, s10
	s_addc_u32 flat_scratch_hi, s7, 0
	s_load_dwordx2 s[28:29], s[4:5], 0x70
	s_load_dwordx4 s[16:19], s[4:5], 0x10
	s_load_dwordx4 s[12:15], s[4:5], 0x48
	s_add_u32 s0, s0, s10
	s_addc_u32 s1, s1, 0
	s_waitcnt lgkmcnt(0)
	s_bitcmp1_b32 s29, 0
	v_mov_b32_e32 v1, 0
	v_mov_b32_e32 v3, s16
	s_cselect_b64 s[6:7], -1, 0
	v_cndmask_b32_e64 v2, v3, v1, s[6:7]
	v_mov_b32_e32 v1, s17
	s_mov_b64 s[10:11], src_private_base
	s_and_b64 vcc, s[6:7], exec
	buffer_store_dword v1, off, s[0:3], 0 offset:4
	buffer_store_dword v3, off, s[0:3], 0
	v_mov_b32_e32 v1, s15
	s_cselect_b32 s10, s11, s17
	buffer_store_dword v1, off, s[0:3], 0 offset:12
	v_mov_b32_e32 v1, s14
	buffer_store_dword v1, off, s[0:3], 0 offset:8
	v_mov_b32_e32 v3, s10
	flat_load_dwordx2 v[4:5], v[2:3]
	s_load_dwordx2 s[20:21], s[4:5], 0x58
	s_xor_b64 s[22:23], s[6:7], -1
	v_pk_mov_b32 v[6:7], s[18:19], s[18:19] op_sel:[0,1]
	s_cbranch_vccnz .LBB3_2
; %bb.1:
	v_pk_mov_b32 v[2:3], s[16:17], s[16:17] op_sel:[0,1]
	flat_load_dwordx2 v[6:7], v[2:3] offset:8
.LBB3_2:
	s_and_b64 s[16:17], s[6:7], exec
	s_cselect_b32 s10, s11, s15
	v_mov_b32_e32 v1, 8
	v_mov_b32_e32 v2, s14
	v_cndmask_b32_e64 v2, v2, v1, s[6:7]
	v_mov_b32_e32 v3, s10
	flat_load_dwordx2 v[8:9], v[2:3]
	s_andn2_b64 vcc, exec, s[22:23]
	s_waitcnt lgkmcnt(0)
	v_pk_mov_b32 v[10:11], s[20:21], s[20:21] op_sel:[0,1]
	s_cbranch_vccnz .LBB3_4
; %bb.3:
	v_pk_mov_b32 v[2:3], s[14:15], s[14:15] op_sel:[0,1]
	flat_load_dwordx2 v[10:11], v[2:3] offset:8
.LBB3_4:
	s_waitcnt vmcnt(0)
	v_cmp_eq_f64_e32 vcc, 0, v[4:5]
	v_cmp_eq_f64_e64 s[6:7], 0, v[6:7]
	s_and_b64 s[14:15], vcc, s[6:7]
	s_mov_b64 s[6:7], -1
	s_and_saveexec_b64 s[10:11], s[14:15]
	s_cbranch_execz .LBB3_6
; %bb.5:
	v_cmp_neq_f64_e32 vcc, 1.0, v[8:9]
	s_waitcnt lgkmcnt(0)
	v_cmp_neq_f64_e64 s[6:7], 0, v[10:11]
	s_or_b64 s[6:7], vcc, s[6:7]
	s_orn2_b64 s[6:7], s[6:7], exec
.LBB3_6:
	s_or_b64 exec, exec, s[10:11]
	s_and_saveexec_b64 s[10:11], s[6:7]
	s_cbranch_execz .LBB3_51
; %bb.7:
	s_load_dwordx4 s[20:23], s[4:5], 0x0
	s_mov_b32 s29, 0
	s_mov_b32 s33, 0
	s_waitcnt lgkmcnt(0)
	s_cmp_lt_i32 s8, s22
	s_cselect_b64 s[6:7], -1, 0
	s_cmp_ge_i32 s8, s22
	s_cbranch_scc1 .LBB3_9
; %bb.8:
	s_load_dwordx2 s[14:15], s[4:5], 0x20
	s_mov_b32 s10, s9
	s_ashr_i32 s9, s8, 31
	s_lshl_b64 s[16:17], s[8:9], 2
	s_mov_b32 s9, s10
	s_waitcnt lgkmcnt(0)
	s_add_u32 s10, s14, s16
	s_addc_u32 s11, s15, s17
	s_load_dwordx2 s[10:11], s[10:11], 0x0
	s_waitcnt lgkmcnt(0)
	s_sub_i32 s29, s10, s28
	s_sub_i32 s33, s11, s28
.LBB3_9:
	s_load_dwordx2 s[14:15], s[4:5], 0x38
	s_waitcnt lgkmcnt(0)
	s_cmp_lt_i32 s14, 1
	s_cbranch_scc1 .LBB3_51
; %bb.10:
	s_load_dwordx4 s[24:27], s[4:5], 0x60
	s_load_dwordx4 s[16:19], s[4:5], 0x28
	s_load_dwordx2 s[10:11], s[4:5], 0x40
	v_bfe_u32 v12, v0, 10, 10
	v_and_b32_e32 v13, 0x3ff, v0
	v_lshl_add_u32 v0, s9, 5, v12
	v_ashrrev_i32_e32 v1, 31, v0
	s_waitcnt lgkmcnt(0)
	v_mul_lo_u32 v14, v1, s26
	v_mul_lo_u32 v15, v0, s27
	v_mad_u64_u32 v[2:3], s[4:5], v0, s26, 0
	v_add3_u32 v3, v3, v15, v14
	v_mul_lo_u32 v16, v1, s12
	v_mul_lo_u32 v17, v0, s13
	v_mad_u64_u32 v[14:15], s[4:5], v0, s12, 0
	v_add3_u32 v15, v15, v17, v16
	v_lshlrev_b64 v[16:17], 4, v[0:1]
	s_cmp_lt_i32 s29, s33
	v_mov_b32_e32 v18, s11
	v_add_co_u32_e32 v19, vcc, s10, v16
	v_cmp_gt_i32_e64 s[4:5], s23, v0
	v_lshlrev_b32_e32 v0, 5, v12
	s_mul_i32 s42, s8, s14
	s_cselect_b64 s[8:9], -1, 0
	v_addc_co_u32_e32 v24, vcc, v18, v17, vcc
	s_cmp_gt_i32 s15, 0
	v_add_lshl_u32 v25, v0, v13, 4
	v_lshlrev_b64 v[0:1], 4, v[14:15]
	s_cselect_b64 s[34:35], -1, 0
	s_cmpk_lg_i32 s21, 0x6f
	v_add_co_u32_e32 v27, vcc, s10, v0
	s_cselect_b64 s[26:27], -1, 0
	v_addc_co_u32_e32 v28, vcc, v18, v1, vcc
	s_cmp_lg_u32 s20, 0
	s_cselect_b64 s[20:21], -1, 0
	s_and_b64 s[22:23], s[6:7], s[4:5]
	v_cmp_neq_f64_e32 vcc, 0, v[8:9]
	v_cmp_neq_f64_e64 s[6:7], 0, v[10:11]
	v_lshlrev_b64 v[0:1], 4, v[2:3]
	s_or_b64 s[30:31], vcc, s[6:7]
	v_add_co_u32_e32 v29, vcc, s24, v0
	v_mov_b32_e32 v0, 0x4000
	s_mul_i32 s6, s29, s14
	v_lshl_add_u32 v32, v12, 9, v0
	v_add_u32_e32 v0, s6, v13
	v_mad_u64_u32 v[14:15], s[6:7], s15, v0, v[12:13]
	v_cndmask_b32_e64 v0, 0, 1, s[8:9]
	v_mov_b32_e32 v2, s25
	v_cmp_ne_u32_e64 s[6:7], 1, v0
	v_cndmask_b32_e64 v0, 0, 1, s[34:35]
	s_mov_b32 s43, 0
	v_add_u32_e32 v26, 0x4000, v25
	v_addc_co_u32_e32 v30, vcc, v2, v1, vcc
	v_lshlrev_b32_e32 v31, 4, v13
	s_lshl_b32 s44, s15, 5
	s_mul_i32 s45, s15, s14
	v_cmp_ne_u32_e64 s[8:9], 1, v0
	s_branch .LBB3_12
.LBB3_11:                               ;   in Loop: Header=BB3_12 Depth=1
	s_or_b64 exec, exec, s[10:11]
	s_add_i32 s43, s43, 32
	s_cmp_lt_i32 s43, s14
	v_add_u32_e32 v14, s44, v14
	s_cbranch_scc0 .LBB3_51
.LBB3_12:                               ; =>This Loop Header: Depth=1
                                        ;     Child Loop BB3_15 Depth 2
                                        ;       Child Loop BB3_18 Depth 3
	v_add_u32_e32 v18, s43, v13
	v_pk_mov_b32 v[16:17], 0, 0
	s_and_b64 vcc, exec, s[6:7]
	v_cmp_gt_i32_e64 s[10:11], s14, v18
	v_pk_mov_b32 v[20:21], v[16:17], v[16:17] op_sel:[0,1]
	s_cbranch_vccnz .LBB3_46
; %bb.13:                               ;   in Loop: Header=BB3_12 Depth=1
	v_pk_mov_b32 v[16:17], 0, 0
	v_mov_b32_e32 v15, v14
	s_mov_b32 s24, s29
	v_pk_mov_b32 v[20:21], v[16:17], v[16:17] op_sel:[0,1]
	s_branch .LBB3_15
.LBB3_14:                               ;   in Loop: Header=BB3_15 Depth=2
	s_add_i32 s24, s24, 1
	s_cmp_ge_i32 s24, s33
	v_add_u32_e32 v15, s45, v15
	s_cbranch_scc1 .LBB3_46
.LBB3_15:                               ;   Parent Loop BB3_12 Depth=1
                                        ; =>  This Loop Header: Depth=2
                                        ;       Child Loop BB3_18 Depth 3
	s_and_b64 vcc, exec, s[8:9]
	s_cbranch_vccnz .LBB3_14
; %bb.16:                               ;   in Loop: Header=BB3_15 Depth=2
	s_ashr_i32 s25, s24, 31
	s_lshl_b64 s[34:35], s[24:25], 2
	s_add_u32 s34, s16, s34
	s_addc_u32 s35, s17, s35
	s_load_dword s34, s[34:35], 0x0
	s_mul_i32 s25, s24, s15
	s_mov_b32 s46, 0
	s_waitcnt lgkmcnt(0)
	s_sub_i32 s34, s34, s28
	s_mul_i32 s34, s34, s15
	v_add_u32_e32 v33, s34, v13
	s_branch .LBB3_18
.LBB3_17:                               ;   in Loop: Header=BB3_18 Depth=3
	s_or_b64 exec, exec, s[36:37]
	s_waitcnt vmcnt(0)
	ds_write_b128 v25, v[0:3]
	s_waitcnt lgkmcnt(0)
	s_barrier
	ds_read_b128 v[0:3], v31
	ds_read_b128 v[34:37], v32
	ds_read_b128 v[38:41], v32 offset:16
	ds_read_b128 v[42:45], v32 offset:32
	;; [unrolled: 1-line block ×4, first 2 shown]
	s_waitcnt lgkmcnt(4)
	v_fmac_f64_e32 v[20:21], v[0:1], v[34:35]
	v_fmac_f64_e32 v[16:17], v[2:3], v[34:35]
	v_fma_f64 v[20:21], -v[2:3], v[36:37], v[20:21]
	v_fmac_f64_e32 v[16:17], v[0:1], v[36:37]
	ds_read_b128 v[0:3], v31 offset:1024
	s_waitcnt lgkmcnt(1)
	v_fmac_f64_e32 v[20:21], v[50:51], v[38:39]
	v_fma_f64 v[34:35], -v[52:53], v[40:41], v[20:21]
	ds_read_b128 v[20:23], v31 offset:1536
	v_fmac_f64_e32 v[16:17], v[52:53], v[38:39]
	s_waitcnt lgkmcnt(1)
	v_fmac_f64_e32 v[34:35], v[0:1], v[42:43]
	v_fmac_f64_e32 v[16:17], v[50:51], v[40:41]
	v_fma_f64 v[34:35], -v[2:3], v[44:45], v[34:35]
	v_fmac_f64_e32 v[16:17], v[2:3], v[42:43]
	s_waitcnt lgkmcnt(0)
	v_fmac_f64_e32 v[34:35], v[20:21], v[46:47]
	v_fmac_f64_e32 v[16:17], v[0:1], v[44:45]
	v_fma_f64 v[42:43], -v[22:23], v[48:49], v[34:35]
	ds_read_b128 v[0:3], v32 offset:64
	ds_read_b128 v[34:37], v31 offset:2048
	v_fmac_f64_e32 v[16:17], v[22:23], v[46:47]
	v_fmac_f64_e32 v[16:17], v[20:21], v[48:49]
	ds_read_b128 v[20:23], v31 offset:2560
	ds_read_b128 v[38:41], v32 offset:80
	s_add_i32 s46, s46, 32
	s_waitcnt lgkmcnt(2)
	v_fmac_f64_e32 v[42:43], v[34:35], v[0:1]
	v_fmac_f64_e32 v[16:17], v[36:37], v[0:1]
	v_fma_f64 v[42:43], -v[36:37], v[2:3], v[42:43]
	v_fmac_f64_e32 v[16:17], v[34:35], v[2:3]
	ds_read_b128 v[0:3], v32 offset:96
	ds_read_b128 v[34:37], v31 offset:3072
	s_waitcnt lgkmcnt(2)
	v_fmac_f64_e32 v[42:43], v[20:21], v[38:39]
	v_fmac_f64_e32 v[16:17], v[22:23], v[38:39]
	v_fma_f64 v[42:43], -v[22:23], v[40:41], v[42:43]
	v_fmac_f64_e32 v[16:17], v[20:21], v[40:41]
	ds_read_b128 v[20:23], v31 offset:3584
	ds_read_b128 v[38:41], v32 offset:112
	;; [unrolled: 7-line block ×26, first 2 shown]
	s_waitcnt lgkmcnt(2)
	v_fmac_f64_e32 v[46:47], v[34:35], v[0:1]
	v_fmac_f64_e32 v[16:17], v[36:37], v[0:1]
	v_fma_f64 v[20:21], -v[36:37], v[2:3], v[46:47]
	v_fmac_f64_e32 v[16:17], v[34:35], v[2:3]
	s_waitcnt lgkmcnt(0)
	v_fmac_f64_e32 v[20:21], v[38:39], v[42:43]
	v_fmac_f64_e32 v[16:17], v[40:41], v[42:43]
	v_fma_f64 v[20:21], -v[40:41], v[44:45], v[20:21]
	v_fmac_f64_e32 v[16:17], v[38:39], v[44:45]
	s_cmp_ge_i32 s46, s15
	s_barrier
	s_cbranch_scc1 .LBB3_14
.LBB3_18:                               ;   Parent Loop BB3_12 Depth=1
                                        ;     Parent Loop BB3_15 Depth=2
                                        ; =>    This Inner Loop Header: Depth=3
	s_and_b64 vcc, exec, s[26:27]
	s_cbranch_vccz .LBB3_24
; %bb.19:                               ;   in Loop: Header=BB3_18 Depth=3
	s_mov_b64 s[36:37], 0
	s_mov_b64 s[34:35], 0
                                        ; implicit-def: $vgpr22_vgpr23
	s_and_saveexec_b64 s[38:39], s[4:5]
	s_cbranch_execz .LBB3_23
; %bb.20:                               ;   in Loop: Header=BB3_18 Depth=3
	v_add_u32_e32 v0, s46, v13
	v_cmp_gt_i32_e32 vcc, s15, v0
                                        ; implicit-def: $vgpr22_vgpr23
	s_and_saveexec_b64 s[40:41], vcc
	s_xor_b64 s[40:41], exec, s[40:41]
; %bb.21:                               ;   in Loop: Header=BB3_18 Depth=3
	v_add_u32_e32 v0, s46, v33
	v_ashrrev_i32_e32 v1, 31, v0
	v_mul_lo_u32 v2, v1, s12
	v_mul_lo_u32 v3, v0, s13
	v_mad_u64_u32 v[0:1], s[48:49], v0, s12, 0
	v_add3_u32 v1, v1, v3, v2
	v_lshlrev_b64 v[0:1], 4, v[0:1]
	v_add_co_u32_e32 v22, vcc, v19, v0
	s_mov_b64 s[34:35], exec
	v_addc_co_u32_e32 v23, vcc, v24, v1, vcc
; %bb.22:                               ;   in Loop: Header=BB3_18 Depth=3
	s_or_b64 exec, exec, s[40:41]
	s_and_b64 s[34:35], s[34:35], exec
.LBB3_23:                               ;   in Loop: Header=BB3_18 Depth=3
	s_or_b64 exec, exec, s[38:39]
	s_and_b64 vcc, exec, s[36:37]
	s_cbranch_vccnz .LBB3_25
	s_branch .LBB3_30
.LBB3_24:                               ;   in Loop: Header=BB3_18 Depth=3
	s_mov_b64 s[36:37], -1
	s_mov_b64 s[34:35], 0
                                        ; implicit-def: $vgpr22_vgpr23
	s_cbranch_execz .LBB3_30
.LBB3_25:                               ;   in Loop: Header=BB3_18 Depth=3
                                        ; implicit-def: $vgpr22_vgpr23
	s_and_saveexec_b64 s[36:37], s[4:5]
	s_cbranch_execz .LBB3_29
; %bb.26:                               ;   in Loop: Header=BB3_18 Depth=3
	v_add_u32_e32 v0, s46, v13
	v_cmp_gt_i32_e32 vcc, s15, v0
	s_mov_b64 s[40:41], s[34:35]
                                        ; implicit-def: $vgpr22_vgpr23
	s_and_saveexec_b64 s[38:39], vcc
; %bb.27:                               ;   in Loop: Header=BB3_18 Depth=3
	v_add_u32_e32 v0, s46, v33
	v_ashrrev_i32_e32 v1, 31, v0
	v_lshlrev_b64 v[0:1], 4, v[0:1]
	v_add_co_u32_e32 v22, vcc, v27, v0
	v_addc_co_u32_e32 v23, vcc, v28, v1, vcc
	s_or_b64 s[40:41], s[34:35], exec
; %bb.28:                               ;   in Loop: Header=BB3_18 Depth=3
	s_or_b64 exec, exec, s[38:39]
	s_andn2_b64 s[34:35], s[34:35], exec
	s_and_b64 s[38:39], s[40:41], exec
	s_or_b64 s[34:35], s[34:35], s[38:39]
.LBB3_29:                               ;   in Loop: Header=BB3_18 Depth=3
	s_or_b64 exec, exec, s[36:37]
	s_mov_b64 s[36:37], 0
.LBB3_30:                               ;   in Loop: Header=BB3_18 Depth=3
	v_pk_mov_b32 v[0:1], s[36:37], s[36:37] op_sel:[0,1]
	v_pk_mov_b32 v[2:3], s[36:37], s[36:37] op_sel:[0,1]
	s_and_saveexec_b64 s[36:37], s[34:35]
	s_cbranch_execnz .LBB3_38
; %bb.31:                               ;   in Loop: Header=BB3_18 Depth=3
	s_or_b64 exec, exec, s[36:37]
	s_and_b64 vcc, exec, s[20:21]
	ds_write_b128 v26, v[0:3]
	s_cbranch_vccz .LBB3_39
.LBB3_32:                               ;   in Loop: Header=BB3_18 Depth=3
	s_mov_b64 s[36:37], 0
	s_mov_b64 s[34:35], 0
                                        ; implicit-def: $vgpr22
	s_and_saveexec_b64 s[38:39], s[10:11]
	s_cbranch_execz .LBB3_36
; %bb.33:                               ;   in Loop: Header=BB3_18 Depth=3
	v_add_u32_e32 v0, s46, v12
	v_cmp_gt_i32_e32 vcc, s15, v0
                                        ; implicit-def: $vgpr22
	s_and_saveexec_b64 s[40:41], vcc
	s_xor_b64 s[40:41], exec, s[40:41]
; %bb.34:                               ;   in Loop: Header=BB3_18 Depth=3
	v_add_u32_e32 v0, s25, v0
	s_mov_b64 s[34:35], exec
	v_mad_u64_u32 v[22:23], s[48:49], v0, s14, v[18:19]
; %bb.35:                               ;   in Loop: Header=BB3_18 Depth=3
	s_or_b64 exec, exec, s[40:41]
	s_and_b64 s[34:35], s[34:35], exec
.LBB3_36:                               ;   in Loop: Header=BB3_18 Depth=3
	s_or_b64 exec, exec, s[38:39]
	s_and_b64 vcc, exec, s[36:37]
	s_cbranch_vccnz .LBB3_40
.LBB3_37:                               ;   in Loop: Header=BB3_18 Depth=3
	v_pk_mov_b32 v[0:1], s[36:37], s[36:37] op_sel:[0,1]
	v_pk_mov_b32 v[2:3], s[36:37], s[36:37] op_sel:[0,1]
	s_and_saveexec_b64 s[36:37], s[34:35]
	s_cbranch_execz .LBB3_17
	s_branch .LBB3_45
.LBB3_38:                               ;   in Loop: Header=BB3_18 Depth=3
	global_load_dwordx4 v[0:3], v[22:23], off
	s_or_b64 exec, exec, s[36:37]
	s_and_b64 vcc, exec, s[20:21]
	s_waitcnt vmcnt(0)
	ds_write_b128 v26, v[0:3]
	s_cbranch_vccnz .LBB3_32
.LBB3_39:                               ;   in Loop: Header=BB3_18 Depth=3
	s_mov_b64 s[36:37], -1
	s_mov_b64 s[34:35], 0
                                        ; implicit-def: $vgpr22
	s_cbranch_execz .LBB3_37
.LBB3_40:                               ;   in Loop: Header=BB3_18 Depth=3
                                        ; implicit-def: $vgpr22
	s_and_saveexec_b64 s[36:37], s[10:11]
	s_cbranch_execz .LBB3_44
; %bb.41:                               ;   in Loop: Header=BB3_18 Depth=3
	v_add_u32_e32 v0, s46, v12
	v_cmp_gt_i32_e32 vcc, s15, v0
	s_mov_b64 s[38:39], s[34:35]
                                        ; implicit-def: $vgpr22
	s_and_saveexec_b64 s[40:41], vcc
; %bb.42:                               ;   in Loop: Header=BB3_18 Depth=3
	v_add_u32_e32 v22, s46, v15
	s_or_b64 s[38:39], s[34:35], exec
; %bb.43:                               ;   in Loop: Header=BB3_18 Depth=3
	s_or_b64 exec, exec, s[40:41]
	s_andn2_b64 s[34:35], s[34:35], exec
	s_and_b64 s[38:39], s[38:39], exec
	s_or_b64 s[34:35], s[34:35], s[38:39]
.LBB3_44:                               ;   in Loop: Header=BB3_18 Depth=3
	s_or_b64 exec, exec, s[36:37]
	s_mov_b64 s[36:37], 0
	v_pk_mov_b32 v[0:1], s[36:37], s[36:37] op_sel:[0,1]
	v_pk_mov_b32 v[2:3], s[36:37], s[36:37] op_sel:[0,1]
	s_and_saveexec_b64 s[36:37], s[34:35]
	s_cbranch_execz .LBB3_17
.LBB3_45:                               ;   in Loop: Header=BB3_18 Depth=3
	v_ashrrev_i32_e32 v23, 31, v22
	v_lshlrev_b64 v[0:1], 4, v[22:23]
	v_mov_b32_e32 v2, s19
	v_add_co_u32_e32 v0, vcc, s18, v0
	v_addc_co_u32_e32 v1, vcc, v2, v1, vcc
	global_load_dwordx4 v[0:3], v[0:1], off
	s_branch .LBB3_17
.LBB3_46:                               ;   in Loop: Header=BB3_12 Depth=1
	v_cmp_gt_i32_e32 vcc, s14, v18
	s_and_b64 s[24:25], s[22:23], vcc
	s_and_saveexec_b64 s[10:11], s[24:25]
	s_cbranch_execz .LBB3_11
; %bb.47:                               ;   in Loop: Header=BB3_12 Depth=1
	v_add_u32_e32 v0, s42, v18
	s_and_saveexec_b64 s[24:25], s[30:31]
	s_xor_b64 s[24:25], exec, s[24:25]
	s_cbranch_execz .LBB3_49
; %bb.48:                               ;   in Loop: Header=BB3_12 Depth=1
	v_ashrrev_i32_e32 v1, 31, v0
	v_lshlrev_b64 v[0:1], 4, v[0:1]
	v_add_co_u32_e32 v34, vcc, v29, v0
	v_addc_co_u32_e32 v35, vcc, v30, v1, vcc
	global_load_dwordx4 v[0:3], v[34:35], off
	v_mul_f64 v[36:37], v[16:17], -v[6:7]
	v_mul_f64 v[22:23], v[4:5], v[16:17]
	v_fmac_f64_e32 v[36:37], v[4:5], v[20:21]
	v_fmac_f64_e32 v[22:23], v[6:7], v[20:21]
                                        ; implicit-def: $vgpr16_vgpr17
	s_waitcnt vmcnt(0)
	v_fmac_f64_e32 v[36:37], v[8:9], v[0:1]
	v_fmac_f64_e32 v[22:23], v[10:11], v[0:1]
	v_fma_f64 v[20:21], -v[10:11], v[2:3], v[36:37]
	v_fmac_f64_e32 v[22:23], v[8:9], v[2:3]
	global_store_dwordx4 v[34:35], v[20:23], off
                                        ; implicit-def: $vgpr20_vgpr21
                                        ; implicit-def: $vgpr0
.LBB3_49:                               ;   in Loop: Header=BB3_12 Depth=1
	s_andn2_saveexec_b64 s[24:25], s[24:25]
	s_cbranch_execz .LBB3_11
; %bb.50:                               ;   in Loop: Header=BB3_12 Depth=1
	v_ashrrev_i32_e32 v1, 31, v0
	v_lshlrev_b64 v[0:1], 4, v[0:1]
	v_mul_f64 v[34:35], v[16:17], -v[6:7]
	v_mul_f64 v[36:37], v[4:5], v[16:17]
	v_add_co_u32_e32 v0, vcc, v29, v0
	v_fmac_f64_e32 v[34:35], v[4:5], v[20:21]
	v_fmac_f64_e32 v[36:37], v[6:7], v[20:21]
	v_addc_co_u32_e32 v1, vcc, v30, v1, vcc
	global_store_dwordx4 v[0:1], v[34:37], off
	s_branch .LBB3_11
.LBB3_51:
	s_endpgm
	.section	.rodata,"a",@progbits
	.p2align	6, 0x0
	.amdhsa_kernel _ZN9rocsparseL31gebsrmm_general_blockdim_kernelILi32ELi32E21rocsparse_complex_numIdEEEv20rocsparse_direction_20rocsparse_operation_iiNS_24const_host_device_scalarIT1_EEPKiS9_PKS6_iiSB_lS7_PS6_l21rocsparse_index_base_b
		.amdhsa_group_segment_fixed_size 32768
		.amdhsa_private_segment_fixed_size 24
		.amdhsa_kernarg_size 120
		.amdhsa_user_sgpr_count 8
		.amdhsa_user_sgpr_private_segment_buffer 1
		.amdhsa_user_sgpr_dispatch_ptr 0
		.amdhsa_user_sgpr_queue_ptr 0
		.amdhsa_user_sgpr_kernarg_segment_ptr 1
		.amdhsa_user_sgpr_dispatch_id 0
		.amdhsa_user_sgpr_flat_scratch_init 1
		.amdhsa_user_sgpr_kernarg_preload_length 0
		.amdhsa_user_sgpr_kernarg_preload_offset 0
		.amdhsa_user_sgpr_private_segment_size 0
		.amdhsa_uses_dynamic_stack 0
		.amdhsa_system_sgpr_private_segment_wavefront_offset 1
		.amdhsa_system_sgpr_workgroup_id_x 1
		.amdhsa_system_sgpr_workgroup_id_y 1
		.amdhsa_system_sgpr_workgroup_id_z 0
		.amdhsa_system_sgpr_workgroup_info 0
		.amdhsa_system_vgpr_workitem_id 1
		.amdhsa_next_free_vgpr 54
		.amdhsa_next_free_sgpr 50
		.amdhsa_accum_offset 56
		.amdhsa_reserve_vcc 1
		.amdhsa_reserve_flat_scratch 1
		.amdhsa_float_round_mode_32 0
		.amdhsa_float_round_mode_16_64 0
		.amdhsa_float_denorm_mode_32 3
		.amdhsa_float_denorm_mode_16_64 3
		.amdhsa_dx10_clamp 1
		.amdhsa_ieee_mode 1
		.amdhsa_fp16_overflow 0
		.amdhsa_tg_split 0
		.amdhsa_exception_fp_ieee_invalid_op 0
		.amdhsa_exception_fp_denorm_src 0
		.amdhsa_exception_fp_ieee_div_zero 0
		.amdhsa_exception_fp_ieee_overflow 0
		.amdhsa_exception_fp_ieee_underflow 0
		.amdhsa_exception_fp_ieee_inexact 0
		.amdhsa_exception_int_div_zero 0
	.end_amdhsa_kernel
	.section	.text._ZN9rocsparseL31gebsrmm_general_blockdim_kernelILi32ELi32E21rocsparse_complex_numIdEEEv20rocsparse_direction_20rocsparse_operation_iiNS_24const_host_device_scalarIT1_EEPKiS9_PKS6_iiSB_lS7_PS6_l21rocsparse_index_base_b,"axG",@progbits,_ZN9rocsparseL31gebsrmm_general_blockdim_kernelILi32ELi32E21rocsparse_complex_numIdEEEv20rocsparse_direction_20rocsparse_operation_iiNS_24const_host_device_scalarIT1_EEPKiS9_PKS6_iiSB_lS7_PS6_l21rocsparse_index_base_b,comdat
.Lfunc_end3:
	.size	_ZN9rocsparseL31gebsrmm_general_blockdim_kernelILi32ELi32E21rocsparse_complex_numIdEEEv20rocsparse_direction_20rocsparse_operation_iiNS_24const_host_device_scalarIT1_EEPKiS9_PKS6_iiSB_lS7_PS6_l21rocsparse_index_base_b, .Lfunc_end3-_ZN9rocsparseL31gebsrmm_general_blockdim_kernelILi32ELi32E21rocsparse_complex_numIdEEEv20rocsparse_direction_20rocsparse_operation_iiNS_24const_host_device_scalarIT1_EEPKiS9_PKS6_iiSB_lS7_PS6_l21rocsparse_index_base_b
                                        ; -- End function
	.section	.AMDGPU.csdata,"",@progbits
; Kernel info:
; codeLenInByte = 2948
; NumSgprs: 56
; NumVgprs: 54
; NumAgprs: 0
; TotalNumVgprs: 54
; ScratchSize: 24
; MemoryBound: 1
; FloatMode: 240
; IeeeMode: 1
; LDSByteSize: 32768 bytes/workgroup (compile time only)
; SGPRBlocks: 6
; VGPRBlocks: 6
; NumSGPRsForWavesPerEU: 56
; NumVGPRsForWavesPerEU: 54
; AccumOffset: 56
; Occupancy: 8
; WaveLimiterHint : 1
; COMPUTE_PGM_RSRC2:SCRATCH_EN: 1
; COMPUTE_PGM_RSRC2:USER_SGPR: 8
; COMPUTE_PGM_RSRC2:TRAP_HANDLER: 0
; COMPUTE_PGM_RSRC2:TGID_X_EN: 1
; COMPUTE_PGM_RSRC2:TGID_Y_EN: 1
; COMPUTE_PGM_RSRC2:TGID_Z_EN: 0
; COMPUTE_PGM_RSRC2:TIDIG_COMP_CNT: 1
; COMPUTE_PGM_RSRC3_GFX90A:ACCUM_OFFSET: 13
; COMPUTE_PGM_RSRC3_GFX90A:TG_SPLIT: 0
	.text
	.p2alignl 6, 3212836864
	.fill 256, 4, 3212836864
	.type	__hip_cuid_85adea2e25dbe68b,@object ; @__hip_cuid_85adea2e25dbe68b
	.section	.bss,"aw",@nobits
	.globl	__hip_cuid_85adea2e25dbe68b
__hip_cuid_85adea2e25dbe68b:
	.byte	0                               ; 0x0
	.size	__hip_cuid_85adea2e25dbe68b, 1

	.ident	"AMD clang version 19.0.0git (https://github.com/RadeonOpenCompute/llvm-project roc-6.4.0 25133 c7fe45cf4b819c5991fe208aaa96edf142730f1d)"
	.section	".note.GNU-stack","",@progbits
	.addrsig
	.addrsig_sym __hip_cuid_85adea2e25dbe68b
	.amdgpu_metadata
---
amdhsa.kernels:
  - .agpr_count:     0
    .args:
      - .offset:         0
        .size:           4
        .value_kind:     by_value
      - .offset:         4
        .size:           4
        .value_kind:     by_value
      - .offset:         8
        .size:           4
        .value_kind:     by_value
      - .offset:         12
        .size:           4
        .value_kind:     by_value
      - .offset:         16
        .size:           8
        .value_kind:     by_value
      - .actual_access:  read_only
        .address_space:  global
        .offset:         24
        .size:           8
        .value_kind:     global_buffer
      - .actual_access:  read_only
        .address_space:  global
        .offset:         32
        .size:           8
        .value_kind:     global_buffer
      - .actual_access:  read_only
        .address_space:  global
        .offset:         40
        .size:           8
        .value_kind:     global_buffer
      - .offset:         48
        .size:           4
        .value_kind:     by_value
      - .offset:         52
        .size:           4
        .value_kind:     by_value
      - .actual_access:  read_only
        .address_space:  global
        .offset:         56
        .size:           8
        .value_kind:     global_buffer
      - .offset:         64
        .size:           8
        .value_kind:     by_value
      - .offset:         72
        .size:           8
        .value_kind:     by_value
      - .address_space:  global
        .offset:         80
        .size:           8
        .value_kind:     global_buffer
      - .offset:         88
        .size:           8
        .value_kind:     by_value
      - .offset:         96
        .size:           4
        .value_kind:     by_value
      - .offset:         100
        .size:           1
        .value_kind:     by_value
    .group_segment_fixed_size: 8192
    .kernarg_segment_align: 8
    .kernarg_segment_size: 104
    .language:       OpenCL C
    .language_version:
      - 2
      - 0
    .max_flat_workgroup_size: 1024
    .name:           _ZN9rocsparseL31gebsrmm_general_blockdim_kernelILi32ELi32EfEEv20rocsparse_direction_20rocsparse_operation_iiNS_24const_host_device_scalarIT1_EEPKiS7_PKS4_iiS9_lS5_PS4_l21rocsparse_index_base_b
    .private_segment_fixed_size: 0
    .sgpr_count:     52
    .sgpr_spill_count: 0
    .symbol:         _ZN9rocsparseL31gebsrmm_general_blockdim_kernelILi32ELi32EfEEv20rocsparse_direction_20rocsparse_operation_iiNS_24const_host_device_scalarIT1_EEPKiS7_PKS4_iiS9_lS5_PS4_l21rocsparse_index_base_b.kd
    .uniform_work_group_size: 1
    .uses_dynamic_stack: false
    .vgpr_count:     40
    .vgpr_spill_count: 0
    .wavefront_size: 64
  - .agpr_count:     0
    .args:
      - .offset:         0
        .size:           4
        .value_kind:     by_value
      - .offset:         4
        .size:           4
        .value_kind:     by_value
      - .offset:         8
        .size:           4
        .value_kind:     by_value
      - .offset:         12
        .size:           4
        .value_kind:     by_value
      - .offset:         16
        .size:           8
        .value_kind:     by_value
      - .actual_access:  read_only
        .address_space:  global
        .offset:         24
        .size:           8
        .value_kind:     global_buffer
      - .actual_access:  read_only
        .address_space:  global
        .offset:         32
        .size:           8
        .value_kind:     global_buffer
      - .actual_access:  read_only
        .address_space:  global
        .offset:         40
        .size:           8
        .value_kind:     global_buffer
      - .offset:         48
        .size:           4
        .value_kind:     by_value
      - .offset:         52
        .size:           4
        .value_kind:     by_value
      - .actual_access:  read_only
        .address_space:  global
        .offset:         56
        .size:           8
        .value_kind:     global_buffer
      - .offset:         64
        .size:           8
        .value_kind:     by_value
      - .offset:         72
        .size:           8
        .value_kind:     by_value
      - .address_space:  global
        .offset:         80
        .size:           8
        .value_kind:     global_buffer
      - .offset:         88
        .size:           8
        .value_kind:     by_value
      - .offset:         96
        .size:           4
        .value_kind:     by_value
      - .offset:         100
        .size:           1
        .value_kind:     by_value
    .group_segment_fixed_size: 16384
    .kernarg_segment_align: 8
    .kernarg_segment_size: 104
    .language:       OpenCL C
    .language_version:
      - 2
      - 0
    .max_flat_workgroup_size: 1024
    .name:           _ZN9rocsparseL31gebsrmm_general_blockdim_kernelILi32ELi32EdEEv20rocsparse_direction_20rocsparse_operation_iiNS_24const_host_device_scalarIT1_EEPKiS7_PKS4_iiS9_lS5_PS4_l21rocsparse_index_base_b
    .private_segment_fixed_size: 0
    .sgpr_count:     50
    .sgpr_spill_count: 0
    .symbol:         _ZN9rocsparseL31gebsrmm_general_blockdim_kernelILi32ELi32EdEEv20rocsparse_direction_20rocsparse_operation_iiNS_24const_host_device_scalarIT1_EEPKiS7_PKS4_iiS9_lS5_PS4_l21rocsparse_index_base_b.kd
    .uniform_work_group_size: 1
    .uses_dynamic_stack: false
    .vgpr_count:     50
    .vgpr_spill_count: 0
    .wavefront_size: 64
  - .agpr_count:     0
    .args:
      - .offset:         0
        .size:           4
        .value_kind:     by_value
      - .offset:         4
        .size:           4
        .value_kind:     by_value
      - .offset:         8
        .size:           4
        .value_kind:     by_value
      - .offset:         12
        .size:           4
        .value_kind:     by_value
      - .offset:         16
        .size:           8
        .value_kind:     by_value
      - .actual_access:  read_only
        .address_space:  global
        .offset:         24
        .size:           8
        .value_kind:     global_buffer
      - .actual_access:  read_only
        .address_space:  global
        .offset:         32
        .size:           8
        .value_kind:     global_buffer
      - .actual_access:  read_only
        .address_space:  global
        .offset:         40
        .size:           8
        .value_kind:     global_buffer
      - .offset:         48
        .size:           4
        .value_kind:     by_value
      - .offset:         52
        .size:           4
        .value_kind:     by_value
      - .actual_access:  read_only
        .address_space:  global
        .offset:         56
        .size:           8
        .value_kind:     global_buffer
      - .offset:         64
        .size:           8
        .value_kind:     by_value
      - .offset:         72
        .size:           8
        .value_kind:     by_value
      - .address_space:  global
        .offset:         80
        .size:           8
        .value_kind:     global_buffer
      - .offset:         88
        .size:           8
        .value_kind:     by_value
      - .offset:         96
        .size:           4
        .value_kind:     by_value
      - .offset:         100
        .size:           1
        .value_kind:     by_value
    .group_segment_fixed_size: 16384
    .kernarg_segment_align: 8
    .kernarg_segment_size: 104
    .language:       OpenCL C
    .language_version:
      - 2
      - 0
    .max_flat_workgroup_size: 1024
    .name:           _ZN9rocsparseL31gebsrmm_general_blockdim_kernelILi32ELi32E21rocsparse_complex_numIfEEEv20rocsparse_direction_20rocsparse_operation_iiNS_24const_host_device_scalarIT1_EEPKiS9_PKS6_iiSB_lS7_PS6_l21rocsparse_index_base_b
    .private_segment_fixed_size: 0
    .sgpr_count:     50
    .sgpr_spill_count: 0
    .symbol:         _ZN9rocsparseL31gebsrmm_general_blockdim_kernelILi32ELi32E21rocsparse_complex_numIfEEEv20rocsparse_direction_20rocsparse_operation_iiNS_24const_host_device_scalarIT1_EEPKiS9_PKS6_iiSB_lS7_PS6_l21rocsparse_index_base_b.kd
    .uniform_work_group_size: 1
    .uses_dynamic_stack: false
    .vgpr_count:     50
    .vgpr_spill_count: 0
    .wavefront_size: 64
  - .agpr_count:     0
    .args:
      - .offset:         0
        .size:           4
        .value_kind:     by_value
      - .offset:         4
        .size:           4
        .value_kind:     by_value
      - .offset:         8
        .size:           4
        .value_kind:     by_value
      - .offset:         12
        .size:           4
        .value_kind:     by_value
      - .offset:         16
        .size:           16
        .value_kind:     by_value
      - .actual_access:  read_only
        .address_space:  global
        .offset:         32
        .size:           8
        .value_kind:     global_buffer
      - .actual_access:  read_only
        .address_space:  global
        .offset:         40
        .size:           8
        .value_kind:     global_buffer
      - .actual_access:  read_only
        .address_space:  global
        .offset:         48
        .size:           8
        .value_kind:     global_buffer
      - .offset:         56
        .size:           4
        .value_kind:     by_value
      - .offset:         60
        .size:           4
        .value_kind:     by_value
      - .actual_access:  read_only
        .address_space:  global
        .offset:         64
        .size:           8
        .value_kind:     global_buffer
      - .offset:         72
        .size:           8
        .value_kind:     by_value
      - .offset:         80
        .size:           16
        .value_kind:     by_value
      - .address_space:  global
        .offset:         96
        .size:           8
        .value_kind:     global_buffer
      - .offset:         104
        .size:           8
        .value_kind:     by_value
      - .offset:         112
        .size:           4
        .value_kind:     by_value
      - .offset:         116
        .size:           1
        .value_kind:     by_value
    .group_segment_fixed_size: 32768
    .kernarg_segment_align: 8
    .kernarg_segment_size: 120
    .language:       OpenCL C
    .language_version:
      - 2
      - 0
    .max_flat_workgroup_size: 1024
    .name:           _ZN9rocsparseL31gebsrmm_general_blockdim_kernelILi32ELi32E21rocsparse_complex_numIdEEEv20rocsparse_direction_20rocsparse_operation_iiNS_24const_host_device_scalarIT1_EEPKiS9_PKS6_iiSB_lS7_PS6_l21rocsparse_index_base_b
    .private_segment_fixed_size: 24
    .sgpr_count:     56
    .sgpr_spill_count: 0
    .symbol:         _ZN9rocsparseL31gebsrmm_general_blockdim_kernelILi32ELi32E21rocsparse_complex_numIdEEEv20rocsparse_direction_20rocsparse_operation_iiNS_24const_host_device_scalarIT1_EEPKiS9_PKS6_iiSB_lS7_PS6_l21rocsparse_index_base_b.kd
    .uniform_work_group_size: 1
    .uses_dynamic_stack: false
    .vgpr_count:     54
    .vgpr_spill_count: 0
    .wavefront_size: 64
amdhsa.target:   amdgcn-amd-amdhsa--gfx90a
amdhsa.version:
  - 1
  - 2
...

	.end_amdgpu_metadata
